;; amdgpu-corpus repo=ROCm/rocFFT kind=compiled arch=gfx1030 opt=O3
	.text
	.amdgcn_target "amdgcn-amd-amdhsa--gfx1030"
	.amdhsa_code_object_version 6
	.protected	bluestein_single_fwd_len1904_dim1_sp_op_CI_CI ; -- Begin function bluestein_single_fwd_len1904_dim1_sp_op_CI_CI
	.globl	bluestein_single_fwd_len1904_dim1_sp_op_CI_CI
	.p2align	8
	.type	bluestein_single_fwd_len1904_dim1_sp_op_CI_CI,@function
bluestein_single_fwd_len1904_dim1_sp_op_CI_CI: ; @bluestein_single_fwd_len1904_dim1_sp_op_CI_CI
; %bb.0:
	s_mov_b64 s[18:19], s[2:3]
	s_mov_b64 s[16:17], s[0:1]
	s_load_dwordx4 s[0:3], s[4:5], 0x28
	v_mul_u32_u24_e32 v1, 0x227, v0
	v_mov_b32_e32 v248, 0
	s_add_u32 s16, s16, s7
	s_addc_u32 s17, s17, 0
	v_lshrrev_b32_e32 v1, 16, v1
	v_add_nc_u32_e32 v247, s6, v1
	s_waitcnt lgkmcnt(0)
	v_cmp_gt_u64_e32 vcc_lo, s[0:1], v[247:248]
	s_and_saveexec_b32 s0, vcc_lo
	s_cbranch_execz .LBB0_23
; %bb.1:
	v_mul_lo_u16 v1, 0x77, v1
	s_clause 0x1
	s_load_dwordx2 s[12:13], s[4:5], 0x0
	s_load_dwordx2 s[14:15], s[4:5], 0x38
	v_sub_nc_u16 v0, v0, v1
	v_and_b32_e32 v140, 0xffff, v0
	v_cmp_gt_u16_e32 vcc_lo, 0x70, v0
	v_lshlrev_b32_e32 v138, 3, v140
	v_or_b32_e32 v139, 0x380, v140
	v_or_b32_e32 v137, 0x700, v140
	s_and_saveexec_b32 s1, vcc_lo
	s_cbranch_execz .LBB0_3
; %bb.2:
	s_load_dwordx2 s[6:7], s[4:5], 0x18
	s_waitcnt lgkmcnt(0)
	v_add_co_u32 v42, s0, s12, v138
	v_add_co_ci_u32_e64 v43, null, s13, 0, s0
	v_lshlrev_b32_e32 v12, 3, v139
	v_add_co_u32 v6, s0, 0x800, v42
	v_add_co_ci_u32_e64 v7, s0, 0, v43, s0
	v_add_co_u32 v8, s0, 0x1000, v42
	v_add_co_ci_u32_e64 v9, s0, 0, v43, s0
	;; [unrolled: 2-line block ×3, first 2 shown]
	v_add_co_u32 v16, s0, 0x2000, v42
	s_load_dwordx4 s[8:11], s[6:7], 0x0
	v_add_co_ci_u32_e64 v17, s0, 0, v43, s0
	v_add_co_u32 v20, s0, 0x2800, v42
	v_add_co_ci_u32_e64 v21, s0, 0, v43, s0
	s_clause 0x2
	global_load_dwordx2 v[0:1], v138, s[12:13]
	global_load_dwordx2 v[2:3], v138, s[12:13] offset:896
	global_load_dwordx2 v[4:5], v138, s[12:13] offset:1792
	v_lshlrev_b32_e32 v22, 3, v137
	global_load_dwordx2 v[12:13], v12, s[12:13]
	v_add_nc_u32_e32 v73, 0xc00, v138
	v_add_nc_u32_e32 v74, 0x1400, v138
	;; [unrolled: 1-line block ×3, first 2 shown]
	global_load_dwordx2 v[22:23], v22, s[12:13]
	v_add_nc_u32_e32 v76, 0x2000, v138
	v_add_nc_u32_e32 v77, 0x2800, v138
	;; [unrolled: 1-line block ×3, first 2 shown]
	s_waitcnt lgkmcnt(0)
	v_mad_u64_u32 v[14:15], null, s10, v247, 0
	v_mad_u64_u32 v[18:19], null, s8, v140, 0
	s_mul_i32 s0, s9, 0x380
	s_mul_hi_u32 s6, s8, 0x380
	s_mul_i32 s7, s8, 0x380
	s_add_i32 s6, s6, s0
	v_mad_u64_u32 v[24:25], null, s11, v247, v[15:16]
	v_mad_u64_u32 v[27:28], null, s9, v140, v[19:20]
	;; [unrolled: 1-line block ×4, first 2 shown]
	v_mov_b32_e32 v15, v24
	v_mov_b32_e32 v19, v27
	v_mov_b32_e32 v24, v26
	v_lshlrev_b64 v[14:15], 3, v[14:15]
	v_mov_b32_e32 v26, v29
	v_lshlrev_b64 v[18:19], 3, v[18:19]
	v_mad_u64_u32 v[29:30], null, s9, v139, v[24:25]
	v_add_co_u32 v36, s0, s2, v14
	v_add_co_ci_u32_e64 v37, s0, s3, v15, s0
	v_mad_u64_u32 v[14:15], null, s9, v137, v[26:27]
	v_add_co_u32 v18, s0, v36, v18
	v_add_co_ci_u32_e64 v19, s0, v37, v19, s0
	v_mov_b32_e32 v26, v29
	v_add_co_u32 v30, s0, v18, s7
	v_add_co_ci_u32_e64 v31, s0, s6, v19, s0
	v_mov_b32_e32 v29, v14
	v_add_co_u32 v14, s0, v30, s7
	v_add_co_ci_u32_e64 v15, s0, s6, v31, s0
	v_lshlrev_b64 v[24:25], 3, v[25:26]
	v_add_co_u32 v26, s0, v14, s7
	v_add_co_ci_u32_e64 v27, s0, s6, v15, s0
	v_lshlrev_b64 v[28:29], 3, v[28:29]
	v_add_co_u32 v32, s0, v26, s7
	v_add_co_ci_u32_e64 v33, s0, s6, v27, s0
	v_add_co_u32 v24, s0, v36, v24
	v_add_co_ci_u32_e64 v25, s0, v37, v25, s0
	;; [unrolled: 2-line block ×5, first 2 shown]
	global_load_dwordx2 v[18:19], v[18:19], off
	v_add_co_u32 v38, s0, v36, s7
	v_add_co_ci_u32_e64 v39, s0, s6, v37, s0
	v_add_co_u32 v42, s0, 0x3000, v42
	s_clause 0x2
	global_load_dwordx2 v[24:25], v[24:25], off
	global_load_dwordx2 v[28:29], v[28:29], off
	;; [unrolled: 1-line block ×3, first 2 shown]
	v_mad_u64_u32 v[40:41], null, 0x700, s8, v[38:39]
	v_add_co_ci_u32_e64 v43, s0, 0, v43, s0
	s_clause 0x3
	global_load_dwordx2 v[44:45], v[6:7], off offset:640
	global_load_dwordx2 v[6:7], v[6:7], off offset:1536
	;; [unrolled: 1-line block ×4, first 2 shown]
	s_clause 0x1
	global_load_dwordx2 v[14:15], v[14:15], off
	global_load_dwordx2 v[26:27], v[26:27], off
	s_clause 0x1
	global_load_dwordx2 v[48:49], v[10:11], off offset:128
	global_load_dwordx2 v[10:11], v[10:11], off offset:1920
	v_mad_u64_u32 v[50:51], null, 0x700, s9, v[41:42]
	v_add_co_u32 v55, s0, v40, s7
	s_clause 0x1
	global_load_dwordx2 v[51:52], v[16:17], off offset:768
	global_load_dwordx2 v[16:17], v[16:17], off offset:1664
	global_load_dwordx2 v[32:33], v[32:33], off
	global_load_dwordx2 v[34:35], v[34:35], off
	s_clause 0x1
	global_load_dwordx2 v[53:54], v[20:21], off offset:512
	global_load_dwordx2 v[20:21], v[20:21], off offset:1408
	global_load_dwordx2 v[36:37], v[36:37], off
	global_load_dwordx2 v[38:39], v[38:39], off
	v_mov_b32_e32 v41, v50
	v_add_nc_u32_e32 v50, 0x400, v138
	v_add_co_ci_u32_e64 v56, s0, s6, v41, s0
	v_add_co_u32 v57, s0, v55, s7
	global_load_dwordx2 v[40:41], v[40:41], off
	v_add_co_ci_u32_e64 v58, s0, s6, v56, s0
	v_add_co_u32 v59, s0, v57, s7
	global_load_dwordx2 v[55:56], v[55:56], off
	;; [unrolled: 3-line block ×5, first 2 shown]
	v_add_co_ci_u32_e64 v66, s0, s6, v64, s0
	global_load_dwordx2 v[63:64], v[63:64], off
	s_clause 0x1
	global_load_dwordx2 v[67:68], v[42:43], off offset:256
	global_load_dwordx2 v[42:43], v[42:43], off offset:1152
	global_load_dwordx2 v[65:66], v[65:66], off
	s_waitcnt vmcnt(28)
	v_mul_f32_e32 v69, v19, v1
	v_mul_f32_e32 v70, v18, v1
	v_fmac_f32_e32 v69, v18, v0
	v_fma_f32 v70, v19, v0, -v70
	s_waitcnt vmcnt(25)
	v_mul_f32_e32 v0, v30, v3
	v_mul_f32_e32 v18, v31, v3
	s_waitcnt vmcnt(20)
	v_mul_f32_e32 v3, v15, v5
	v_mul_f32_e32 v71, v25, v13
	v_mul_f32_e32 v13, v24, v13
	v_fma_f32 v19, v31, v2, -v0
	v_mul_f32_e32 v0, v14, v5
	v_fmac_f32_e32 v3, v14, v4
	v_fmac_f32_e32 v71, v24, v12
	s_waitcnt vmcnt(14)
	v_mul_f32_e32 v5, v33, v7
	v_mul_f32_e32 v7, v32, v7
	v_fma_f32 v4, v15, v4, -v0
	v_mul_f32_e32 v0, v26, v45
	v_fma_f32 v72, v25, v12, -v13
	v_mul_f32_e32 v12, v27, v45
	s_waitcnt vmcnt(13)
	v_mul_f32_e32 v14, v35, v47
	v_mul_f32_e32 v15, v34, v47
	v_fma_f32 v13, v27, v44, -v0
	v_fmac_f32_e32 v5, v32, v6
	v_fma_f32 v6, v33, v6, -v7
	s_waitcnt vmcnt(10)
	v_mul_f32_e32 v7, v37, v9
	v_mul_f32_e32 v0, v36, v9
	v_fmac_f32_e32 v18, v30, v2
	v_fmac_f32_e32 v12, v26, v44
	;; [unrolled: 1-line block ×3, first 2 shown]
	v_fma_f32 v15, v35, v46, -v15
	v_fmac_f32_e32 v7, v36, v8
	v_fma_f32 v8, v37, v8, -v0
	s_waitcnt vmcnt(9)
	v_mul_f32_e32 v0, v38, v49
	ds_write2_b64 v138, v[69:70], v[18:19] offset1:112
	ds_write2_b64 v50, v[3:4], v[12:13] offset0:96 offset1:208
	ds_write2_b64 v73, v[5:6], v[14:15] offset0:64 offset1:176
	s_waitcnt vmcnt(8)
	v_mul_f32_e32 v5, v41, v11
	v_mul_f32_e32 v6, v40, v11
	v_fma_f32 v4, v39, v48, -v0
	s_waitcnt vmcnt(7)
	v_mul_f32_e32 v0, v55, v52
	v_mul_f32_e32 v3, v39, v49
	v_fmac_f32_e32 v5, v40, v10
	v_fma_f32 v6, v41, v10, -v6
	v_mul_f32_e32 v9, v56, v52
	v_fma_f32 v10, v56, v51, -v0
	s_waitcnt vmcnt(6)
	v_mul_f32_e32 v0, v57, v17
	v_mul_f32_e32 v11, v58, v17
	s_waitcnt vmcnt(5)
	v_mul_f32_e32 v13, v60, v54
	v_mul_f32_e32 v14, v59, v54
	;; [unrolled: 1-line block ×3, first 2 shown]
	s_waitcnt vmcnt(4)
	v_mul_f32_e32 v15, v62, v21
	v_fma_f32 v12, v58, v16, -v0
	v_mul_f32_e32 v0, v61, v21
	s_waitcnt vmcnt(2)
	v_mul_f32_e32 v17, v64, v68
	v_mul_f32_e32 v18, v63, v68
	s_waitcnt vmcnt(0)
	v_mul_f32_e32 v19, v66, v43
	v_mul_f32_e32 v21, v65, v43
	v_mul_f32_e32 v23, v28, v23
	v_fmac_f32_e32 v3, v38, v48
	v_fmac_f32_e32 v9, v55, v51
	;; [unrolled: 1-line block ×4, first 2 shown]
	v_fma_f32 v14, v60, v53, -v14
	v_fmac_f32_e32 v15, v61, v20
	v_fma_f32 v16, v62, v20, -v0
	v_fmac_f32_e32 v17, v63, v67
	;; [unrolled: 2-line block ×4, first 2 shown]
	v_fma_f32 v2, v29, v22, -v23
	ds_write2_b64 v74, v[7:8], v[3:4] offset0:32 offset1:144
	ds_write2_b64 v75, v[71:72], v[5:6] offset0:128 offset1:240
	;; [unrolled: 1-line block ×5, first 2 shown]
	ds_write_b64 v138, v[1:2] offset:14336
.LBB0_3:
	s_or_b32 exec_lo, exec_lo, s1
	s_clause 0x1
	s_load_dwordx2 s[0:1], s[4:5], 0x20
	s_load_dwordx2 s[2:3], s[4:5], 0x8
	v_mov_b32_e32 v0, 0
	v_mov_b32_e32 v1, 0
	s_waitcnt lgkmcnt(0)
	s_barrier
	buffer_gl0_inv
                                        ; implicit-def: $vgpr32
                                        ; implicit-def: $vgpr6
                                        ; implicit-def: $vgpr10
                                        ; implicit-def: $vgpr14
                                        ; implicit-def: $vgpr22
                                        ; implicit-def: $vgpr30
                                        ; implicit-def: $vgpr18
                                        ; implicit-def: $vgpr26
                                        ; kill: def $vgpr2 killed $sgpr0 killed $exec
	s_and_saveexec_b32 s4, vcc_lo
	s_cbranch_execz .LBB0_5
; %bb.4:
	v_add_nc_u32_e32 v4, 0x400, v138
	v_add_nc_u32_e32 v5, 0xc00, v138
	;; [unrolled: 1-line block ×3, first 2 shown]
	ds_read2_b64 v[0:3], v138 offset1:112
	v_add_nc_u32_e32 v7, 0x2800, v138
	ds_read2_b64 v[24:27], v4 offset0:96 offset1:208
	ds_read2_b64 v[16:19], v5 offset0:64 offset1:176
	v_add_nc_u32_e32 v4, 0x1800, v138
	v_add_nc_u32_e32 v5, 0x2000, v138
	;; [unrolled: 1-line block ×3, first 2 shown]
	ds_read2_b64 v[28:31], v6 offset0:32 offset1:144
	ds_read2_b64 v[20:23], v4 offset0:128 offset1:240
	;; [unrolled: 1-line block ×5, first 2 shown]
	ds_read_b64 v[32:33], v138 offset:14336
.LBB0_5:
	s_or_b32 exec_lo, exec_lo, s4
	s_waitcnt lgkmcnt(0)
	v_sub_f32_e32 v44, v3, v33
	v_sub_f32_e32 v79, v2, v32
	v_add_f32_e32 v68, v32, v2
	v_add_f32_e32 v75, v33, v3
	v_sub_f32_e32 v144, v25, v7
	v_mul_f32_e32 v48, 0xbeb8f4ab, v44
	v_mul_f32_e32 v49, 0xbeb8f4ab, v79
	v_sub_f32_e32 v82, v24, v6
	v_add_f32_e32 v71, v6, v24
	v_add_f32_e32 v77, v7, v25
	v_fmamk_f32 v34, v68, 0x3f6eb680, v48
	v_fma_f32 v35, 0x3f6eb680, v75, -v49
	v_mul_f32_e32 v50, 0xbf2c7751, v144
	v_mul_f32_e32 v51, 0xbf2c7751, v82
	v_sub_f32_e32 v145, v27, v5
	v_sub_f32_e32 v85, v26, v4
	v_add_f32_e32 v34, v34, v0
	v_add_f32_e32 v35, v35, v1
	v_fmamk_f32 v36, v71, 0x3f3d2fb0, v50
	v_fma_f32 v37, 0x3f3d2fb0, v77, -v51
	v_add_f32_e32 v73, v4, v26
	v_mul_f32_e32 v52, 0xbf65296c, v145
	v_add_f32_e32 v81, v5, v27
	v_mul_f32_e32 v53, 0xbf65296c, v85
	v_sub_f32_e32 v148, v17, v11
	v_sub_f32_e32 v87, v16, v10
	v_add_f32_e32 v34, v36, v34
	v_add_f32_e32 v35, v37, v35
	v_fmamk_f32 v36, v73, 0x3ee437d1, v52
	v_fma_f32 v37, 0x3ee437d1, v81, -v53
	v_add_f32_e32 v74, v10, v16
	v_add_f32_e32 v80, v11, v17
	v_mul_f32_e32 v54, 0xbf7ee86f, v148
	v_mul_f32_e32 v55, 0xbf7ee86f, v87
	v_sub_f32_e32 v149, v19, v9
	v_sub_f32_e32 v83, v18, v8
	v_add_f32_e32 v34, v36, v34
	v_add_f32_e32 v35, v37, v35
	v_fmamk_f32 v36, v74, 0x3dbcf732, v54
	v_fma_f32 v37, 0x3dbcf732, v80, -v55
	v_add_f32_e32 v76, v8, v18
	v_mul_f32_e32 v56, 0xbf763a35, v149
	v_add_f32_e32 v86, v9, v19
	v_mul_f32_e32 v57, 0xbf763a35, v83
	v_sub_f32_e32 v47, v29, v15
	v_sub_f32_e32 v78, v28, v14
	v_add_f32_e32 v34, v36, v34
	v_add_f32_e32 v35, v37, v35
	v_fmamk_f32 v36, v76, 0xbe8c1d8e, v56
	v_fma_f32 v37, 0xbe8c1d8e, v86, -v57
	v_add_f32_e32 v66, v14, v28
	v_add_f32_e32 v88, v15, v29
	;; [unrolled: 20-line block ×3, first 2 shown]
	v_mul_f32_e32 v62, 0xbe3c28d5, v46
	v_mul_f32_e32 v63, 0xbe3c28d5, v72
	v_add_f32_e32 v34, v36, v34
	v_add_f32_e32 v35, v37, v35
	v_fmamk_f32 v36, v69, 0xbf7ba420, v62
	v_fma_f32 v37, 0xbf7ba420, v90, -v63
	s_barrier
	buffer_gl0_inv
	v_add_f32_e32 v64, v36, v34
	v_add_f32_e32 v65, v37, v35
	s_and_saveexec_b32 s4, vcc_lo
	s_cbranch_execz .LBB0_7
; %bb.6:
	v_mul_f32_e32 v105, 0x3f3d2fb0, v75
	v_mul_f32_e32 v101, 0xbf2c7751, v44
	;; [unrolled: 1-line block ×5, first 2 shown]
	v_fmamk_f32 v34, v79, 0x3f2c7751, v105
	v_fmamk_f32 v35, v68, 0x3f3d2fb0, v101
	;; [unrolled: 1-line block ×3, first 2 shown]
	v_mul_f32_e32 v100, 0xbf4c4adb, v145
	v_fmamk_f32 v37, v71, 0x3dbcf732, v102
	v_add_f32_e32 v34, v34, v1
	v_add_f32_e32 v35, v35, v0
	v_mul_f32_e32 v106, 0xbf7ba420, v80
	v_fmamk_f32 v38, v85, 0x3f4c4adb, v103
	v_mul_f32_e32 v98, 0xbe3c28d5, v148
	v_add_f32_e32 v34, v36, v34
	v_fmamk_f32 v36, v73, 0xbf1a4643, v100
	v_add_f32_e32 v35, v37, v35
	v_mul_f32_e32 v97, 0xbf59a7d5, v86
	v_fmamk_f32 v37, v87, 0x3e3c28d5, v106
	v_add_f32_e32 v34, v38, v34
	v_mul_f32_e32 v99, 0x3f06c442, v149
	v_fmamk_f32 v38, v74, 0xbf7ba420, v98
	v_add_f32_e32 v35, v36, v35
	v_fmamk_f32 v36, v83, 0xbf06c442, v97
	v_add_f32_e32 v34, v37, v34
	v_mul_f32_e32 v95, 0xbe8c1d8e, v88
	v_fmamk_f32 v37, v76, 0xbf59a7d5, v99
	v_add_f32_e32 v35, v38, v35
	v_mul_f32_e32 v92, 0x3f763a35, v47
	v_add_f32_e32 v34, v36, v34
	v_fmamk_f32 v36, v78, 0xbf763a35, v95
	v_mul_f32_e32 v96, 0x3ee437d1, v89
	v_add_f32_e32 v35, v37, v35
	v_fmamk_f32 v37, v66, 0xbe8c1d8e, v92
	;; [unrolled: 3-line block ×97, first 2 shown]
	v_fmac_f32_e32 v181, 0xbf06c442, v79
	v_add_f32_e32 v149, v205, v180
	v_fmamk_f32 v180, v76, 0xbf1a4643, v208
	v_mul_f32_e32 v205, 0x3f65296c, v47
	v_add_f32_e32 v47, v148, v144
	v_add_f32_e32 v144, v181, v1
	v_fma_f32 v181, 0x3ee437d1, v71, -v182
	v_add_f32_e32 v148, v180, v149
	v_fmamk_f32 v149, v66, 0x3ee437d1, v205
	v_mul_f32_e32 v180, 0xbf763a35, v143
	v_fma_f32 v143, 0xbf59a7d5, v68, -v183
	v_mul_f32_e32 v182, 0x3dbcf732, v90
	v_fmac_f32_e32 v152, 0xbf763a35, v79
	v_add_f32_e32 v148, v149, v148
	v_fmamk_f32 v149, v67, 0xbe8c1d8e, v180
	v_add_f32_e32 v143, v143, v0
	v_fmac_f32_e32 v154, 0x3f06c442, v82
	v_add_f32_e32 v152, v152, v1
	v_fmac_f32_e32 v156, 0x3f2c7751, v85
	v_add_f32_e32 v148, v149, v148
	v_add_f32_e32 v143, v181, v143
	v_fma_f32 v149, 0x3dbcf732, v73, -v188
	v_mul_f32_e32 v181, 0x3f7ee86f, v46
	v_fmamk_f32 v46, v72, 0xbf7ee86f, v182
	v_add_f32_e32 v152, v154, v152
	v_fmac_f32_e32 v158, 0xbf65296c, v87
	v_add_f32_e32 v143, v149, v143
	v_fma_f32 v149, 0xbf1a4643, v74, -v190
	v_add_f32_e32 v47, v46, v47
	v_fmamk_f32 v46, v69, 0x3dbcf732, v181
	v_add_f32_e32 v152, v156, v152
	v_fmac_f32_e32 v118, 0xbf65296c, v79
	v_add_f32_e32 v143, v149, v143
	v_fma_f32 v149, 0x3f6eb680, v76, -v192
	v_add_f32_e32 v46, v46, v148
	v_fma_f32 v148, 0xbf7ba420, v66, -v194
	v_add_f32_e32 v152, v158, v152
	v_fmac_f32_e32 v160, 0xbe3c28d5, v83
	v_add_f32_e32 v143, v149, v143
	v_fma_f32 v149, 0xbe8c1d8e, v68, -v153
	v_fma_f32 v153, 0xbf59a7d5, v71, -v155
	v_fmac_f32_e32 v197, 0xbe3c28d5, v79
	v_add_f32_e32 v118, v118, v1
	v_add_f32_e32 v143, v148, v143
	v_fma_f32 v148, 0x3f3d2fb0, v67, -v196
	v_add_f32_e32 v149, v149, v0
	v_fmac_f32_e32 v122, 0xbf4c4adb, v82
	v_add_f32_e32 v152, v160, v152
	v_fmac_f32_e32 v162, 0x3f7ee86f, v78
	v_add_f32_e32 v143, v148, v143
	v_add_f32_e32 v148, v153, v149
	v_fma_f32 v149, 0x3f3d2fb0, v73, -v157
	v_fma_f32 v153, 0xbe8c1d8e, v69, -v200
	v_fmac_f32_e32 v199, 0x3eb8f4ab, v82
	v_add_f32_e32 v118, v122, v118
	v_fmac_f32_e32 v119, 0x3e3c28d5, v85
	v_add_f32_e32 v148, v149, v148
	v_fma_f32 v149, 0x3ee437d1, v74, -v159
	v_add_f32_e32 v143, v153, v143
	v_add_f32_e32 v153, v197, v1
	v_fma_f32 v115, 0x3ee437d1, v68, -v115
	v_add_f32_e32 v152, v162, v152
	v_add_f32_e32 v148, v149, v148
	v_fma_f32 v149, 0xbf7ba420, v76, -v161
	v_fmac_f32_e32 v164, 0xbeb8f4ab, v70
	v_add_f32_e32 v153, v199, v153
	v_fmac_f32_e32 v202, 0xbf06c442, v85
	v_add_f32_e32 v118, v119, v118
	v_add_f32_e32 v148, v149, v148
	v_fma_f32 v149, 0x3dbcf732, v66, -v163
	v_fmac_f32_e32 v120, 0x3f763a35, v87
	v_add_f32_e32 v115, v115, v0
	v_fma_f32 v116, 0xbf1a4643, v71, -v116
	v_add_f32_e32 v152, v164, v152
	v_add_f32_e32 v148, v149, v148
	v_fma_f32 v149, 0x3f6eb680, v67, -v165
	v_fmac_f32_e32 v166, 0xbf4c4adb, v72
	v_add_f32_e32 v153, v202, v153
	v_fmac_f32_e32 v204, 0x3f2c7751, v87
	v_fma_f32 v154, 0xbf7ba420, v68, -v203
	v_add_f32_e32 v118, v120, v118
	v_fmac_f32_e32 v121, 0x3f2c7751, v83
	v_add_f32_e32 v115, v116, v115
	v_fma_f32 v116, 0xbf7ba420, v73, -v117
	v_add_f32_e32 v148, v149, v148
	v_add_f32_e32 v149, v166, v152
	;; [unrolled: 1-line block ×4, first 2 shown]
	v_fma_f32 v154, 0x3f6eb680, v71, -v187
	v_fmac_f32_e32 v168, 0xbf4c4adb, v79
	v_fmac_f32_e32 v133, 0xbf7ee86f, v79
	v_add_f32_e32 v118, v121, v118
	v_fmac_f32_e32 v105, 0xbf2c7751, v79
	v_fmac_f32_e32 v114, 0xbeb8f4ab, v78
	v_add_f32_e32 v79, v116, v115
	v_fma_f32 v112, 0xbe8c1d8e, v74, -v112
	v_fmac_f32_e32 v184, 0x3f65296c, v82
	v_fma_f32 v155, 0xbf1a4643, v69, -v167
	v_add_f32_e32 v153, v154, v153
	v_fma_f32 v145, 0xbf59a7d5, v73, -v145
	v_add_f32_e32 v154, v168, v1
	v_fmac_f32_e32 v170, 0x3f763a35, v82
	v_fmac_f32_e32 v135, 0xbe3c28d5, v82
	;; [unrolled: 1-line block ×3, first 2 shown]
	v_add_f32_e32 v82, v105, v1
	v_add_f32_e32 v105, v114, v118
	v_fmac_f32_e32 v113, 0xbf7ee86f, v70
	v_add_f32_e32 v79, v112, v79
	v_fma_f32 v110, 0x3f3d2fb0, v76, -v110
	v_fmac_f32_e32 v189, 0x3f4c4adb, v87
	v_add_f32_e32 v148, v155, v148
	v_add_f32_e32 v145, v145, v153
	v_fma_f32 v153, 0x3f3d2fb0, v74, -v207
	v_add_f32_e32 v154, v170, v154
	v_fmac_f32_e32 v172, 0xbeb8f4ab, v85
	v_fma_f32 v155, 0xbf1a4643, v68, -v169
	v_fmac_f32_e32 v174, 0xbf06c442, v87
	v_add_f32_e32 v133, v133, v1
	v_fma_f32 v134, 0x3dbcf732, v68, -v134
	v_fmac_f32_e32 v128, 0x3eb8f4ab, v87
	v_add_f32_e32 v82, v104, v82
	v_add_f32_e32 v104, v113, v105
	;; [unrolled: 1-line block ×3, first 2 shown]
	v_fma_f32 v105, 0x3f6eb680, v66, -v111
	v_fmac_f32_e32 v106, 0xbe3c28d5, v87
	v_mul_f32_e32 v87, 0x3f6eb680, v68
	v_fma_f32 v68, 0x3f3d2fb0, v68, -v101
	v_add_f32_e32 v3, v3, v1
	v_add_f32_e32 v2, v2, v0
	;; [unrolled: 1-line block ×3, first 2 shown]
	v_fma_f32 v153, 0xbf1a4643, v76, -v208
	v_add_f32_e32 v154, v172, v154
	v_add_f32_e32 v155, v155, v0
	v_fma_f32 v156, 0xbe8c1d8e, v71, -v171
	v_add_f32_e32 v133, v135, v133
	v_fmac_f32_e32 v141, 0x3f763a35, v85
	v_add_f32_e32 v134, v134, v0
	v_fma_f32 v135, 0xbf7ba420, v71, -v136
	v_add_f32_e32 v79, v105, v79
	v_mul_f32_e32 v105, 0x3f3d2fb0, v71
	v_fma_f32 v71, 0x3dbcf732, v71, -v102
	v_add_f32_e32 v68, v68, v0
	v_add_f32_e32 v3, v25, v3
	;; [unrolled: 1-line block ×4, first 2 shown]
	v_fma_f32 v153, 0x3ee437d1, v66, -v205
	v_add_f32_e32 v154, v174, v154
	v_fmac_f32_e32 v176, 0x3f7ee86f, v83
	v_add_f32_e32 v155, v156, v155
	v_fma_f32 v156, 0x3f6eb680, v73, -v173
	v_add_f32_e32 v133, v141, v133
	v_add_f32_e32 v134, v135, v134
	v_fma_f32 v135, 0xbe8c1d8e, v73, -v142
	v_add_f32_e32 v110, v71, v68
	v_fma_f32 v100, 0xbf1a4643, v73, -v100
	v_add_f32_e32 v3, v27, v3
	v_add_f32_e32 v2, v26, v2
	;; [unrolled: 1-line block ×3, first 2 shown]
	v_fma_f32 v153, 0xbe8c1d8e, v67, -v180
	v_add_f32_e32 v154, v176, v154
	v_fmac_f32_e32 v178, 0xbf2c7751, v78
	v_add_f32_e32 v155, v156, v155
	v_fma_f32 v156, 0xbf59a7d5, v74, -v175
	v_add_f32_e32 v128, v128, v133
	v_fmac_f32_e32 v129, 0xbf65296c, v83
	v_add_f32_e32 v133, v135, v134
	v_fma_f32 v131, 0x3f6eb680, v74, -v131
	v_mul_f32_e32 v101, 0x3dbcf732, v74
	v_add_f32_e32 v100, v100, v110
	v_fma_f32 v74, 0xbf7ba420, v74, -v98
	v_add_f32_e32 v3, v17, v3
	v_add_f32_e32 v16, v16, v2
	;; [unrolled: 1-line block ×5, first 2 shown]
	v_fma_f32 v155, 0x3dbcf732, v76, -v177
	v_add_f32_e32 v128, v129, v128
	v_add_f32_e32 v129, v131, v133
	v_fma_f32 v131, 0x3ee437d1, v76, -v132
	v_mul_f32_e32 v102, 0xbe8c1d8e, v76
	v_add_f32_e32 v74, v74, v100
	v_fma_f32 v76, 0xbf59a7d5, v76, -v99
	v_add_f32_e32 v3, v19, v3
	v_add_f32_e32 v16, v18, v16
	v_fmac_f32_e32 v195, 0x3f2c7751, v70
	v_fmac_f32_e32 v185, 0xbf763a35, v70
	;; [unrolled: 1-line block ×6, first 2 shown]
	v_add_f32_e32 v70, v76, v74
	v_fma_f32 v24, 0xbe8c1d8e, v66, -v92
	v_add_f32_e32 v3, v29, v3
	v_add_f32_e32 v16, v28, v16
	;; [unrolled: 1-line block ×3, first 2 shown]
	v_mul_f32_e32 v103, 0x3f6eb680, v75
	v_add_f32_e32 v24, v24, v70
	v_fma_f32 v26, 0x3ee437d1, v67, -v94
	v_add_f32_e32 v3, v31, v3
	v_add_f32_e32 v16, v30, v16
	v_mul_f32_e32 v77, 0x3f3d2fb0, v77
	v_sub_f32_e32 v19, v87, v48
	v_add_f32_e32 v17, v26, v24
	v_add_f32_e32 v24, v49, v103
	;; [unrolled: 1-line block ×5, first 2 shown]
	v_mul_f32_e32 v106, 0x3ee437d1, v73
	v_mul_f32_e32 v81, 0x3ee437d1, v81
	v_add_f32_e32 v1, v24, v1
	v_add_f32_e32 v24, v51, v77
	v_add_f32_e32 v0, v19, v0
	v_sub_f32_e32 v19, v105, v50
	v_add_f32_e32 v3, v23, v3
	v_add_f32_e32 v16, v22, v16
	v_mul_f32_e32 v80, 0x3dbcf732, v80
	v_add_f32_e32 v1, v24, v1
	v_add_f32_e32 v24, v53, v81
	;; [unrolled: 1-line block ×3, first 2 shown]
	v_sub_f32_e32 v19, v106, v52
	v_add_f32_e32 v3, v13, v3
	v_add_f32_e32 v12, v12, v16
	;; [unrolled: 1-line block ×3, first 2 shown]
	v_fmac_f32_e32 v186, 0xbf7ee86f, v85
	v_mul_f32_e32 v86, 0xbe8c1d8e, v86
	v_add_f32_e32 v1, v24, v1
	v_add_f32_e32 v20, v55, v80
	;; [unrolled: 1-line block ×3, first 2 shown]
	v_sub_f32_e32 v19, v101, v54
	v_add_f32_e32 v3, v15, v3
	v_add_f32_e32 v12, v14, v12
	;; [unrolled: 1-line block ×3, first 2 shown]
	v_fmac_f32_e32 v191, 0xbeb8f4ab, v83
	v_fmac_f32_e32 v201, 0xbf4c4adb, v83
	;; [unrolled: 1-line block ×3, first 2 shown]
	v_mul_f32_e32 v83, 0xbf1a4643, v66
	v_mul_f32_e32 v88, 0xbf1a4643, v88
	v_add_f32_e32 v1, v20, v1
	v_add_f32_e32 v13, v57, v86
	;; [unrolled: 1-line block ×3, first 2 shown]
	v_sub_f32_e32 v16, v102, v56
	v_add_f32_e32 v3, v9, v3
	v_add_f32_e32 v8, v8, v12
	v_fmac_f32_e32 v130, 0xbf06c442, v78
	v_add_f32_e32 v144, v189, v144
	v_mul_f32_e32 v111, 0xbf59a7d5, v67
	v_mul_f32_e32 v89, 0xbf59a7d5, v89
	v_add_f32_e32 v1, v13, v1
	v_add_f32_e32 v13, v59, v88
	;; [unrolled: 1-line block ×3, first 2 shown]
	v_sub_f32_e32 v9, v83, v58
	v_add_f32_e32 v3, v11, v3
	v_add_f32_e32 v8, v10, v8
	;; [unrolled: 1-line block ×3, first 2 shown]
	v_fmac_f32_e32 v95, 0x3f763a35, v78
	v_add_f32_e32 v122, v130, v128
	v_add_f32_e32 v128, v131, v129
	v_fma_f32 v119, 0xbf59a7d5, v66, -v126
	v_add_f32_e32 v144, v191, v144
	v_fmac_f32_e32 v193, 0xbe3c28d5, v78
	v_add_f32_e32 v154, v155, v154
	v_fma_f32 v150, 0x3f3d2fb0, v66, -v150
	v_add_f32_e32 v152, v201, v152
	v_fmac_f32_e32 v206, 0x3f65296c, v78
	v_mul_f32_e32 v112, 0xbf7ba420, v69
	v_mul_f32_e32 v90, 0xbf7ba420, v90
	v_add_f32_e32 v1, v13, v1
	v_add_f32_e32 v12, v61, v89
	;; [unrolled: 1-line block ×3, first 2 shown]
	v_sub_f32_e32 v9, v111, v60
	v_add_f32_e32 v3, v5, v3
	v_add_f32_e32 v4, v4, v8
	v_fma_f32 v107, 0x3dbcf732, v67, -v107
	v_add_f32_e32 v78, v95, v82
	v_add_f32_e32 v119, v119, v128
	v_fma_f32 v117, 0xbf1a4643, v67, -v125
	;; [unrolled: 3-line block ×3, first 2 shown]
	v_add_f32_e32 v152, v206, v152
	v_add_f32_e32 v1, v12, v1
	;; [unrolled: 1-line block ×4, first 2 shown]
	v_sub_f32_e32 v8, v112, v62
	v_add_f32_e32 v7, v7, v3
	v_add_f32_e32 v9, v6, v4
	v_mul_lo_u16 v10, v140, 17
	v_mov_b32_e32 v11, 3
	v_fmac_f32_e32 v109, 0xbf06c442, v72
	v_add_f32_e32 v79, v107, v79
	v_fma_f32 v98, 0xbf59a7d5, v69, -v108
	v_add_f32_e32 v25, v96, v78
	v_fmac_f32_e32 v93, 0x3eb8f4ab, v72
	v_fma_f32 v18, 0x3f6eb680, v69, -v91
	v_add_f32_e32 v122, v127, v122
	v_add_f32_e32 v85, v117, v119
	v_fmac_f32_e32 v123, 0x3f2c7751, v72
	v_fma_f32 v115, 0x3f3d2fb0, v69, -v124
	v_add_f32_e32 v144, v195, v144
	v_fmac_f32_e32 v198, 0xbf763a35, v72
	v_add_f32_e32 v153, v179, v153
	v_add_f32_e32 v136, v150, v136
	v_fmac_f32_e32 v146, 0x3f65296c, v72
	v_fma_f32 v114, 0x3ee437d1, v69, -v147
	v_add_f32_e32 v152, v185, v152
	v_fmac_f32_e32 v182, 0x3f7ee86f, v72
	v_fma_f32 v113, 0x3dbcf732, v69, -v181
	v_add_f32_e32 v4, v5, v1
	v_add_f32_e32 v3, v8, v0
	;; [unrolled: 1-line block ×4, first 2 shown]
	v_lshlrev_b32_sdwa v0, v11, v10 dst_sel:DWORD dst_unused:UNUSED_PAD src0_sel:DWORD src1_sel:WORD_0
	v_add_f32_e32 v75, v109, v104
	v_add_f32_e32 v74, v98, v79
	;; [unrolled: 1-line block ×11, first 2 shown]
	ds_write2_b64 v0, v[5:6], v[3:4] offset1:1
	ds_write2_b64 v0, v[1:2], v[74:75] offset0:2 offset1:3
	ds_write2_b64 v0, v[72:73], v[148:149] offset0:4 offset1:5
	;; [unrolled: 1-line block ×7, first 2 shown]
	ds_write_b64 v0, v[64:65] offset:128
.LBB0_7:
	s_or_b32 exec_lo, exec_lo, s4
	v_add_co_u32 v41, null, 0x1dc, v140
	v_mov_b32_e32 v4, 0xf0f1
	v_add_co_u32 v42, null, 0x253, v140
	v_mov_b32_e32 v3, 3
	s_load_dwordx4 s[4:7], s[0:1], 0x0
	v_mul_u32_u24_sdwa v13, v41, v4 dst_sel:DWORD dst_unused:UNUSED_PAD src0_sel:WORD_0 src1_sel:DWORD
	v_mul_u32_u24_sdwa v14, v42, v4 dst_sel:DWORD dst_unused:UNUSED_PAD src0_sel:WORD_0 src1_sel:DWORD
	s_waitcnt lgkmcnt(0)
	s_barrier
	buffer_gl0_inv
	v_lshrrev_b32_e32 v48, 20, v13
	v_lshrrev_b32_e32 v49, 20, v14
	v_and_b32_e32 v0, 0xff, v140
	v_add_co_u32 v43, null, 0x2ca, v140
	v_mul_lo_u16 v11, v48, 17
	v_mul_lo_u16 v12, v49, 17
	;; [unrolled: 1-line block ×3, first 2 shown]
	v_add_nc_u16 v8, v140, 0x77
	v_add_co_u32 v45, null, 0x341, v140
	v_sub_nc_u16 v52, v41, v11
	v_sub_nc_u16 v53, v42, v12
	v_lshrrev_b16 v6, 12, v5
	v_mul_u32_u24_sdwa v15, v43, v4 dst_sel:DWORD dst_unused:UNUSED_PAD src0_sel:WORD_0 src1_sel:DWORD
	v_and_b32_e32 v0, 0xff, v8
	v_lshlrev_b32_sdwa v12, v3, v52 dst_sel:DWORD dst_unused:UNUSED_PAD src0_sel:DWORD src1_sel:WORD_0
	v_mul_u32_u24_sdwa v16, v45, v4 dst_sel:DWORD dst_unused:UNUSED_PAD src0_sel:WORD_0 src1_sel:DWORD
	v_mul_lo_u16 v1, v6, 17
	v_lshrrev_b32_e32 v50, 20, v15
	v_mul_lo_u16 v44, 0xf1, v0
	global_load_dwordx2 v[86:87], v12, s[2:3]
	v_lshrrev_b32_e32 v51, 20, v16
	v_sub_nc_u16 v1, v140, v1
	v_mul_lo_u16 v17, v50, 17
	v_add_co_u32 v7, null, 0x165, v140
	v_lshrrev_b16 v46, 12, v44
	v_and_b32_e32 v47, 0xff, v1
	v_add_nc_u16 v1, v140, 0xee
	v_mul_lo_u16 v11, v51, 17
	v_sub_nc_u16 v55, v43, v17
	v_mul_u32_u24_sdwa v17, v7, v4 dst_sel:DWORD dst_unused:UNUSED_PAD src0_sel:WORD_0 src1_sel:DWORD
	v_mul_lo_u16 v9, v46, 17
	v_mul_u32_u24_sdwa v2, v1, v4 dst_sel:DWORD dst_unused:UNUSED_PAD src0_sel:WORD_0 src1_sel:DWORD
	v_lshlrev_b32_e32 v10, 3, v47
	v_sub_nc_u16 v56, v45, v11
	v_lshlrev_b32_sdwa v11, v3, v53 dst_sel:DWORD dst_unused:UNUSED_PAD src0_sel:DWORD src1_sel:WORD_0
	v_lshlrev_b32_sdwa v4, v3, v55 dst_sel:DWORD dst_unused:UNUSED_PAD src0_sel:DWORD src1_sel:WORD_0
	v_lshrrev_b32_e32 v54, 20, v2
	v_lshrrev_b32_e32 v57, 20, v17
	s_clause 0x2
	global_load_dwordx2 v[95:96], v10, s[2:3]
	global_load_dwordx2 v[88:89], v11, s[2:3]
	;; [unrolled: 1-line block ×3, first 2 shown]
	v_sub_nc_u16 v4, v8, v9
	v_mul_lo_u16 v9, v54, 17
	v_mul_lo_u16 v10, v57, 17
	v_lshlrev_b32_sdwa v141, v3, v140 dst_sel:DWORD dst_unused:UNUSED_PAD src0_sel:DWORD src1_sel:WORD_0
	v_lshlrev_b32_sdwa v12, v3, v56 dst_sel:DWORD dst_unused:UNUSED_PAD src0_sel:DWORD src1_sel:WORD_0
	v_and_b32_e32 v58, 0xff, v4
	v_sub_nc_u16 v59, v1, v9
	v_sub_nc_u16 v60, v7, v10
	v_add_nc_u32_e32 v62, 0x1c00, v141
	v_add_nc_u32_e32 v63, 0x400, v141
	v_lshlrev_b32_e32 v4, 3, v58
	v_lshlrev_b32_sdwa v9, v3, v59 dst_sel:DWORD dst_unused:UNUSED_PAD src0_sel:DWORD src1_sel:WORD_0
	v_lshlrev_b32_sdwa v10, v3, v60 dst_sel:DWORD dst_unused:UNUSED_PAD src0_sel:DWORD src1_sel:WORD_0
	v_add_nc_u32_e32 v66, 0x2400, v141
	v_add_nc_u32_e32 v67, 0xc00, v141
	v_add_nc_u32_e32 v68, 0x2c00, v141
	s_clause 0x3
	global_load_dwordx2 v[83:84], v12, s[2:3]
	global_load_dwordx2 v[99:100], v4, s[2:3]
	;; [unrolled: 1-line block ×4, first 2 shown]
	ds_read2_b64 v[9:12], v141 offset1:119
	v_add_nc_u32_e32 v69, 0x1400, v141
	v_add_nc_u32_e32 v4, 0x3000, v141
	v_lshrrev_b32_e32 v72, 21, v17
	v_lshrrev_b32_e32 v73, 21, v13
	;; [unrolled: 1-line block ×5, first 2 shown]
	ds_read2_b64 v[13:16], v62 offset0:56 offset1:175
	ds_read2_b64 v[17:20], v63 offset0:110 offset1:229
	;; [unrolled: 1-line block ×7, first 2 shown]
	v_lshrrev_b16 v70, 13, v5
	v_mov_b32_e32 v61, 34
	v_mul_lo_u16 v5, v6, 34
	v_lshrrev_b16 v44, 13, v44
	v_mad_u16 v48, v48, 34, v52
	v_mul_lo_u16 v6, v70, 34
	v_mul_u32_u24_sdwa v46, v46, v61 dst_sel:DWORD dst_unused:UNUSED_PAD src0_sel:WORD_0 src1_sel:DWORD
	v_and_b32_e32 v5, 0xfe, v5
	v_mul_lo_u16 v61, v44, 34
	s_waitcnt vmcnt(0) lgkmcnt(0)
	v_sub_nc_u16 v6, v140, v6
	s_barrier
	v_add_lshl_u32 v148, v5, v47, 3
	buffer_gl0_inv
	v_mad_u16 v49, v49, 34, v53
	v_and_b32_e32 v52, 0xff, v6
	v_sub_nc_u16 v6, v8, v61
	v_mad_u16 v50, v50, 34, v55
	v_mad_u16 v51, v51, 34, v56
	v_lshlrev_b32_sdwa v144, v3, v49 dst_sel:DWORD dst_unused:UNUSED_PAD src0_sel:DWORD src1_sel:WORD_0
	v_mad_u16 v57, v57, 34, v60
	v_and_b32_e32 v47, 0xff, v6
	v_lshlrev_b32_sdwa v143, v3, v50 dst_sel:DWORD dst_unused:UNUSED_PAD src0_sel:DWORD src1_sel:WORD_0
	v_lshlrev_b32_sdwa v85, v3, v51 dst_sel:DWORD dst_unused:UNUSED_PAD src0_sel:DWORD src1_sel:WORD_0
	v_add_lshl_u32 v149, v46, v58, 3
	v_lshlrev_b32_sdwa v146, v3, v57 dst_sel:DWORD dst_unused:UNUSED_PAD src0_sel:DWORD src1_sel:WORD_0
	v_mad_u16 v54, v54, 34, v59
	v_lshrrev_b32_e32 v71, 21, v2
	v_mul_lo_u16 v78, v72, 34
	v_mul_lo_u16 v79, v73, 34
	;; [unrolled: 1-line block ×3, first 2 shown]
	v_lshlrev_b32_sdwa v147, v3, v54 dst_sel:DWORD dst_unused:UNUSED_PAD src0_sel:DWORD src1_sel:WORD_0
	v_mul_lo_u16 v77, v71, 34
	v_mul_lo_u16 v81, v75, 34
	v_sub_nc_u16 v7, v7, v78
	v_sub_nc_u16 v41, v41, v79
	v_mul_lo_u16 v82, v76, 34
	v_sub_nc_u16 v77, v1, v77
	v_sub_nc_u16 v42, v42, v80
	v_lshlrev_b32_sdwa v145, v3, v48 dst_sel:DWORD dst_unused:UNUSED_PAD src0_sel:DWORD src1_sel:WORD_0
	v_lshlrev_b32_e32 v48, 3, v52
	v_sub_nc_u16 v43, v43, v81
	v_lshlrev_b32_e32 v46, 3, v47
	v_sub_nc_u16 v45, v45, v82
	v_lshlrev_b32_sdwa v53, v3, v77 dst_sel:DWORD dst_unused:UNUSED_PAD src0_sel:DWORD src1_sel:WORD_0
	v_cmp_gt_u16_e64 s0, 34, v140
	v_mul_f32_e32 v5, v30, v87
	v_mul_f32_e32 v6, v29, v87
	v_fma_f32 v5, v29, v86, -v5
	buffer_store_dword v86, off, s[16:19], 0 offset:8 ; 4-byte Folded Spill
	buffer_store_dword v87, off, s[16:19], 0 offset:12 ; 4-byte Folded Spill
	v_sub_f32_e32 v5, v25, v5
	v_mul_f32_e32 v58, v13, v96
	v_mul_f32_e32 v49, v32, v89
	;; [unrolled: 1-line block ×5, first 2 shown]
	v_fmac_f32_e32 v58, v14, v95
	v_fma_f32 v29, v31, v88, -v49
	v_fmac_f32_e32 v50, v32, v88
	v_mul_f32_e32 v54, v37, v249
	v_sub_f32_e32 v14, v28, v50
	v_fmac_f32_e32 v54, v38, v248
	v_mul_f32_e32 v38, v16, v100
	v_mul_f32_e32 v55, v40, v84
	;; [unrolled: 1-line block ×4, first 2 shown]
	v_fma_f32 v38, v15, v99, -v38
	v_fma_f32 v31, v39, v83, -v55
	buffer_store_dword v83, off, s[16:19], 0 ; 4-byte Folded Spill
	buffer_store_dword v84, off, s[16:19], 0 offset:4 ; 4-byte Folded Spill
	v_mul_f32_e32 v55, v23, v91
	v_mul_f32_e32 v39, v15, v100
	v_fmac_f32_e32 v49, v22, v97
	v_sub_f32_e32 v31, v35, v31
	v_fmac_f32_e32 v39, v16, v99
	v_sub_f32_e32 v16, v10, v58
	v_fma_f32 v10, v10, 2.0, -v16
	v_fmac_f32_e32 v6, v30, v86
	v_fma_f32 v30, v37, v248, -v51
	v_mul_f32_e32 v51, v24, v91
	v_fma_f32 v37, v13, v95, -v57
	v_sub_f32_e32 v13, v27, v29
	v_sub_f32_e32 v6, v26, v6
	;; [unrolled: 1-line block ×3, first 2 shown]
	v_fma_f32 v50, v23, v90, -v51
	buffer_store_dword v90, off, s[16:19], 0 offset:16 ; 4-byte Folded Spill
	buffer_store_dword v91, off, s[16:19], 0 offset:20 ; 4-byte Folded Spill
	v_sub_f32_e32 v30, v34, v54
	v_sub_f32_e32 v15, v9, v37
	v_fma_f32 v23, v27, 2.0, -v13
	v_fma_f32 v27, v35, 2.0, -v31
	v_add_nc_u32_e32 v51, 0x2800, v141
	v_fma_f32 v9, v9, 2.0, -v15
	v_fmac_f32_e32 v56, v40, v83
	v_mul_f32_e32 v40, v22, v98
	v_fma_f32 v22, v26, 2.0, -v6
	v_fma_f32 v26, v34, 2.0, -v30
	v_sub_f32_e32 v34, v12, v39
	v_sub_f32_e32 v39, v19, v50
	v_fma_f32 v40, v21, v97, -v40
	v_fma_f32 v21, v25, 2.0, -v5
	v_fma_f32 v25, v33, 2.0, -v29
	v_sub_f32_e32 v33, v11, v38
	v_sub_f32_e32 v38, v18, v49
	;; [unrolled: 1-line block ×4, first 2 shown]
	v_fma_f32 v12, v12, 2.0, -v34
	v_fma_f32 v11, v11, 2.0, -v33
	;; [unrolled: 1-line block ×5, first 2 shown]
	v_add_nc_u32_e32 v49, 0x1800, v141
	v_add_nc_u32_e32 v50, 0x2000, v141
	v_fmac_f32_e32 v55, v24, v90
	v_fma_f32 v24, v28, 2.0, -v14
	v_fma_f32 v28, v36, 2.0, -v32
	v_sub_f32_e32 v40, v20, v55
	v_fma_f32 v20, v20, 2.0, -v40
	ds_write2_b64 v148, v[9:10], v[15:16] offset1:17
	ds_write2_b64 v149, v[11:12], v[33:34] offset1:17
	;; [unrolled: 1-line block ×8, first 2 shown]
	v_lshlrev_b32_sdwa v5, v3, v7 dst_sel:DWORD dst_unused:UNUSED_PAD src0_sel:DWORD src1_sel:WORD_0
	v_lshlrev_b32_sdwa v6, v3, v41 dst_sel:DWORD dst_unused:UNUSED_PAD src0_sel:DWORD src1_sel:WORD_0
	s_waitcnt lgkmcnt(0)
	s_waitcnt_vscnt null, 0x0
	s_barrier
	buffer_gl0_inv
	s_clause 0x2
	global_load_dwordx2 v[115:116], v48, s[2:3] offset:136
	global_load_dwordx2 v[111:112], v46, s[2:3] offset:136
	;; [unrolled: 1-line block ×3, first 2 shown]
	v_lshlrev_b32_sdwa v9, v3, v42 dst_sel:DWORD dst_unused:UNUSED_PAD src0_sel:DWORD src1_sel:WORD_0
	global_load_dwordx2 v[109:110], v5, s[2:3] offset:136
	v_lshlrev_b32_sdwa v5, v3, v43 dst_sel:DWORD dst_unused:UNUSED_PAD src0_sel:DWORD src1_sel:WORD_0
	global_load_dwordx2 v[113:114], v53, s[2:3] offset:136
	v_lshlrev_b32_sdwa v6, v3, v45 dst_sel:DWORD dst_unused:UNUSED_PAD src0_sel:DWORD src1_sel:WORD_0
	s_clause 0x2
	global_load_dwordx2 v[105:106], v9, s[2:3] offset:136
	global_load_dwordx2 v[103:104], v5, s[2:3] offset:136
	;; [unrolled: 1-line block ×3, first 2 shown]
	v_mad_u16 v13, 0x44, v71, v77
	v_mad_u16 v17, 0x44, v73, v41
	;; [unrolled: 1-line block ×3, first 2 shown]
	ds_read2_b64 v[9:12], v62 offset0:56 offset1:175
	v_mad_u16 v21, 0x44, v75, v43
	v_lshlrev_b32_sdwa v155, v3, v13 dst_sel:DWORD dst_unused:UNUSED_PAD src0_sel:DWORD src1_sel:WORD_0
	ds_read2_b64 v[13:16], v66 offset0:38 offset1:157
	v_mad_u16 v22, 0x44, v76, v45
	v_lshlrev_b32_sdwa v153, v3, v17 dst_sel:DWORD dst_unused:UNUSED_PAD src0_sel:DWORD src1_sel:WORD_0
	v_lshlrev_b32_sdwa v152, v3, v18 dst_sel:DWORD dst_unused:UNUSED_PAD src0_sel:DWORD src1_sel:WORD_0
	ds_read2_b64 v[17:20], v68 offset0:20 offset1:139
	v_lshlrev_b32_sdwa v151, v3, v21 dst_sel:DWORD dst_unused:UNUSED_PAD src0_sel:DWORD src1_sel:WORD_0
	v_lshlrev_b32_sdwa v150, v3, v22 dst_sel:DWORD dst_unused:UNUSED_PAD src0_sel:DWORD src1_sel:WORD_0
	ds_read2_b64 v[21:24], v4 offset0:130 offset1:249
	ds_read2_b64 v[25:28], v141 offset1:119
	ds_read2_b64 v[29:32], v63 offset0:110 offset1:229
	ds_read2_b64 v[33:36], v67 offset0:92 offset1:211
	;; [unrolled: 1-line block ×3, first 2 shown]
	v_mul_lo_u16 v6, 0x44, v70
	v_mov_b32_e32 v5, 0x44
	v_mad_u16 v7, 0x44, v72, v7
	v_add_nc_u32_e32 v46, 0x800, v141
	v_add_nc_u32_e32 v48, 0x1000, v141
	v_and_b32_e32 v6, 0xfc, v6
	v_mul_u32_u24_sdwa v5, v44, v5 dst_sel:DWORD dst_unused:UNUSED_PAD src0_sel:WORD_0 src1_sel:DWORD
	v_lshlrev_b32_sdwa v154, v3, v7 dst_sel:DWORD dst_unused:UNUSED_PAD src0_sel:DWORD src1_sel:WORD_0
	s_waitcnt vmcnt(0) lgkmcnt(0)
	s_barrier
	v_add_lshl_u32 v156, v6, v52, 3
	v_add_lshl_u32 v157, v5, v47, 3
	buffer_gl0_inv
                                        ; implicit-def: $vgpr70
                                        ; implicit-def: $vgpr72
                                        ; implicit-def: $vgpr76
                                        ; implicit-def: $vgpr74
	v_mul_f32_e32 v3, v10, v116
	v_mul_f32_e32 v6, v9, v116
	;; [unrolled: 1-line block ×16, first 2 shown]
	v_fma_f32 v3, v9, v115, -v3
	v_fmac_f32_e32 v6, v10, v115
	v_fma_f32 v9, v11, v111, -v5
	v_fmac_f32_e32 v7, v12, v111
	;; [unrolled: 2-line block ×8, first 2 shown]
	v_sub_f32_e32 v5, v25, v3
	v_sub_f32_e32 v6, v26, v6
	;; [unrolled: 1-line block ×16, first 2 shown]
	v_fma_f32 v21, v25, 2.0, -v5
	v_fma_f32 v22, v26, 2.0, -v6
	;; [unrolled: 1-line block ×16, first 2 shown]
	ds_write2_b64 v156, v[21:22], v[5:6] offset1:34
	ds_write2_b64 v157, v[23:24], v[9:10] offset1:34
	;; [unrolled: 1-line block ×8, first 2 shown]
	s_waitcnt lgkmcnt(0)
	s_barrier
	buffer_gl0_inv
	ds_read2_b64 v[36:39], v141 offset1:119
	ds_read2_b64 v[60:63], v46 offset0:16 offset1:135
	ds_read2_b64 v[56:59], v48 offset0:32 offset1:151
	;; [unrolled: 1-line block ×6, first 2 shown]
	s_and_saveexec_b32 s1, s0
	s_cbranch_execz .LBB0_9
; %bb.8:
	ds_read_b64 v[66:67], v141 offset:1904
	ds_read_b64 v[68:69], v141 offset:4080
	;; [unrolled: 1-line block ×7, first 2 shown]
.LBB0_9:
	s_or_b32 exec_lo, exec_lo, s1
	v_add_nc_u32_e32 v3, 0xffffffbc, v140
	v_cmp_gt_u16_e64 s1, 0x44, v140
	v_mul_lo_u16 v0, 0x79, v0
	v_lshrrev_b32_e32 v5, 22, v2
	v_mov_b32_e32 v81, 0x1dc
	v_cndmask_b32_e64 v78, v3, v140, s1
	v_lshrrev_b16 v79, 13, v0
	v_mul_i32_i24_e32 v3, 48, v78
	v_mul_hi_i32_i24_e32 v4, 48, v78
	v_mul_lo_u16 v11, 0x44, v79
	v_mul_u32_u24_sdwa v79, v79, v81 dst_sel:DWORD dst_unused:UNUSED_PAD src0_sel:WORD_0 src1_sel:DWORD
	v_add_co_u32 v2, s1, s2, v3
	v_add_co_ci_u32_e64 v3, s1, s3, v4, s1
	v_mul_lo_u16 v4, 0x44, v5
	v_sub_nc_u16 v12, v8, v11
	s_clause 0x1
	global_load_dwordx4 v[32:35], v[2:3], off offset:408
	global_load_dwordx4 v[28:31], v[2:3], off offset:424
	v_sub_nc_u16 v142, v1, v4
	v_and_b32_e32 v80, 0xff, v12
	global_load_dwordx4 v[20:23], v[2:3], off offset:440
	v_mul_lo_u16 v1, v142, 48
	v_mad_u64_u32 v[12:13], null, v80, 48, s[2:3]
	v_add_lshl_u32 v158, v79, v80, 3
	v_and_b32_e32 v1, 0xffff, v1
	v_add_nc_u32_e32 v79, 0x800, v158
	v_add_co_u32 v9, s1, s2, v1
	v_add_co_ci_u32_e64 v10, null, s3, 0, s1
	v_cmp_lt_u16_e64 s1, 0x43, v140
	s_clause 0x5
	global_load_dwordx4 v[4:7], v[9:10], off offset:408
	global_load_dwordx4 v[0:3], v[9:10], off offset:424
	;; [unrolled: 1-line block ×6, first 2 shown]
	v_cndmask_b32_e64 v82, 0, 0x1dc, s1
	s_waitcnt vmcnt(0) lgkmcnt(0)
	s_barrier
	buffer_gl0_inv
	v_add_lshl_u32 v159, v78, v82, 3
	v_add_nc_u32_e32 v78, 0x800, v159
	v_mul_f32_e32 v80, v61, v33
	v_mul_f32_e32 v81, v60, v33
	;; [unrolled: 1-line block ×12, first 2 shown]
	v_fma_f32 v60, v60, v32, -v80
	v_fmac_f32_e32 v81, v61, v32
	v_fma_f32 v56, v56, v34, -v82
	v_fmac_f32_e32 v83, v57, v34
	;; [unrolled: 2-line block ×6, first 2 shown]
	v_mul_f32_e32 v45, v69, v5
	v_mul_f32_e32 v48, v68, v5
	;; [unrolled: 1-line block ×12, first 2 shown]
	v_add_f32_e32 v125, v60, v41
	v_add_f32_e32 v126, v81, v124
	v_sub_f32_e32 v41, v60, v41
	v_sub_f32_e32 v60, v81, v124
	v_add_f32_e32 v81, v56, v40
	v_add_f32_e32 v124, v83, v122
	v_sub_f32_e32 v40, v56, v40
	v_sub_f32_e32 v56, v83, v122
	;; [unrolled: 4-line block ×3, first 2 shown]
	v_mul_f32_e32 v118, v63, v25
	v_mul_f32_e32 v120, v62, v25
	;; [unrolled: 1-line block ×12, first 2 shown]
	v_fma_f32 v45, v68, v4, -v45
	v_fmac_f32_e32 v48, v69, v4
	v_fma_f32 v49, v64, v6, -v49
	v_fmac_f32_e32 v53, v65, v6
	;; [unrolled: 2-line block ×6, first 2 shown]
	v_add_f32_e32 v69, v81, v125
	v_add_f32_e32 v70, v124, v126
	v_sub_f32_e32 v71, v81, v125
	v_sub_f32_e32 v73, v125, v83
	;; [unrolled: 1-line block ×5, first 2 shown]
	v_add_f32_e32 v77, v44, v40
	v_add_f32_e32 v80, v52, v56
	v_sub_f32_e32 v81, v44, v40
	v_sub_f32_e32 v117, v52, v56
	;; [unrolled: 1-line block ×4, first 2 shown]
	v_fma_f32 v62, v62, v24, -v118
	v_fmac_f32_e32 v120, v63, v24
	v_fma_f32 v58, v58, v26, -v127
	v_fmac_f32_e32 v128, v59, v26
	;; [unrolled: 2-line block ×4, first 2 shown]
	v_sub_f32_e32 v72, v124, v126
	v_sub_f32_e32 v44, v41, v44
	;; [unrolled: 1-line block ×3, first 2 shown]
	v_fma_f32 v54, v54, v16, -v129
	v_fmac_f32_e32 v130, v55, v16
	v_fma_f32 v46, v46, v18, -v131
	v_fmac_f32_e32 v132, v47, v18
	v_add_f32_e32 v47, v83, v69
	v_add_f32_e32 v50, v122, v70
	;; [unrolled: 1-line block ×4, first 2 shown]
	v_mul_f32_e32 v55, 0x3f4a47b2, v73
	v_mul_f32_e32 v59, 0x3f4a47b2, v74
	;; [unrolled: 1-line block ×8, first 2 shown]
	v_add_f32_e32 v77, v45, v68
	v_add_f32_e32 v80, v48, v123
	v_sub_f32_e32 v45, v45, v68
	v_add_f32_e32 v68, v49, v65
	v_add_f32_e32 v81, v53, v119
	v_sub_f32_e32 v49, v49, v65
	v_sub_f32_e32 v53, v53, v119
	v_add_f32_e32 v65, v57, v64
	v_add_f32_e32 v83, v61, v82
	v_sub_f32_e32 v57, v64, v57
	v_sub_f32_e32 v61, v82, v61
	v_add_f32_e32 v64, v62, v43
	v_add_f32_e32 v82, v120, v136
	;; [unrolled: 1-line block ×4, first 2 shown]
	v_sub_f32_e32 v48, v48, v123
	v_sub_f32_e32 v62, v62, v43
	;; [unrolled: 1-line block ×5, first 2 shown]
	v_add_f32_e32 v121, v54, v46
	v_add_f32_e32 v122, v130, v132
	v_sub_f32_e32 v46, v46, v54
	v_sub_f32_e32 v54, v132, v130
	v_add_f32_e32 v42, v36, v47
	v_add_f32_e32 v43, v37, v50
	v_fmamk_f32 v36, v75, 0x3d64c772, v55
	v_fmamk_f32 v37, v76, 0x3d64c772, v59
	v_fma_f32 v60, 0x3f3bfb3b, v71, -v60
	v_fma_f32 v63, 0x3f3bfb3b, v72, -v63
	;; [unrolled: 1-line block ×4, first 2 shown]
	v_fmamk_f32 v71, v44, 0x3eae86e6, v69
	v_fmamk_f32 v72, v52, 0x3eae86e6, v70
	v_fma_f32 v69, 0x3f5ff5aa, v40, -v69
	v_fma_f32 v56, 0x3f5ff5aa, v56, -v70
	;; [unrolled: 1-line block ×4, first 2 shown]
	v_add_f32_e32 v40, v68, v77
	v_add_f32_e32 v44, v81, v80
	v_sub_f32_e32 v52, v68, v77
	v_sub_f32_e32 v74, v81, v80
	v_sub_f32_e32 v75, v77, v65
	v_sub_f32_e32 v76, v80, v83
	v_sub_f32_e32 v68, v65, v68
	v_sub_f32_e32 v77, v83, v81
	v_add_f32_e32 v80, v57, v49
	v_add_f32_e32 v125, v118, v64
	;; [unrolled: 1-line block ×4, first 2 shown]
	v_sub_f32_e32 v123, v57, v49
	v_sub_f32_e32 v124, v61, v53
	;; [unrolled: 1-line block ×11, first 2 shown]
	v_add_f32_e32 v129, v46, v58
	v_add_f32_e32 v130, v54, v120
	v_sub_f32_e32 v131, v46, v58
	v_sub_f32_e32 v132, v54, v120
	;; [unrolled: 1-line block ×4, first 2 shown]
	v_fmamk_f32 v47, v47, 0xbf955555, v42
	v_fmamk_f32 v50, v50, 0xbf955555, v43
	v_fmac_f32_e32 v71, 0x3ee1c552, v41
	v_fmac_f32_e32 v69, 0x3ee1c552, v41
	;; [unrolled: 1-line block ×3, first 2 shown]
	v_add_f32_e32 v65, v65, v40
	v_add_f32_e32 v83, v83, v44
	;; [unrolled: 1-line block ×3, first 2 shown]
	v_mul_f32_e32 v40, 0x3f4a47b2, v75
	v_mul_f32_e32 v41, 0x3f4a47b2, v76
	;; [unrolled: 1-line block ×4, first 2 shown]
	v_add_f32_e32 v121, v121, v125
	v_add_f32_e32 v122, v122, v126
	v_sub_f32_e32 v61, v48, v61
	v_sub_f32_e32 v46, v62, v46
	;; [unrolled: 1-line block ×3, first 2 shown]
	v_fmac_f32_e32 v72, 0x3ee1c552, v51
	v_fmac_f32_e32 v56, 0x3ee1c552, v51
	;; [unrolled: 1-line block ×3, first 2 shown]
	v_add_f32_e32 v81, v81, v48
	v_mul_f32_e32 v48, 0xbf08b237, v123
	v_mul_f32_e32 v51, 0xbf08b237, v124
	v_mul_f32_e32 v75, 0x3f5ff5aa, v49
	v_mul_f32_e32 v76, 0x3f5ff5aa, v53
	v_add_f32_e32 v62, v129, v62
	v_add_f32_e32 v117, v130, v117
	v_mul_f32_e32 v64, 0x3f4a47b2, v64
	v_mul_f32_e32 v82, 0x3f4a47b2, v82
	;; [unrolled: 1-line block ×8, first 2 shown]
	v_add_f32_e32 v131, v36, v47
	v_add_f32_e32 v132, v37, v50
	;; [unrolled: 1-line block ×8, first 2 shown]
	v_fmamk_f32 v66, v68, 0x3d64c772, v40
	v_fmamk_f32 v67, v77, 0x3d64c772, v41
	v_fma_f32 v68, 0x3f3bfb3b, v52, -v44
	v_fma_f32 v77, 0x3f3bfb3b, v74, -v45
	v_add_f32_e32 v44, v38, v121
	v_add_f32_e32 v45, v39, v122
	v_fma_f32 v133, 0xbf3bfb3b, v52, -v40
	v_fma_f32 v74, 0xbf3bfb3b, v74, -v41
	v_fmamk_f32 v40, v57, 0x3eae86e6, v48
	v_fmamk_f32 v41, v61, 0x3eae86e6, v51
	v_fma_f32 v135, 0x3f5ff5aa, v49, -v48
	v_fma_f32 v136, 0x3f5ff5aa, v53, -v51
	v_fma_f32 v75, 0xbeae86e6, v57, -v75
	v_fma_f32 v61, 0xbeae86e6, v61, -v76
	v_fmamk_f32 v76, v118, 0x3d64c772, v64
	v_fmamk_f32 v118, v119, 0x3d64c772, v82
	v_fma_f32 v119, 0x3f3bfb3b, v127, -v123
	v_fma_f32 v123, 0x3f3bfb3b, v128, -v124
	v_fmamk_f32 v124, v46, 0x3eae86e6, v125
	v_fmamk_f32 v161, v54, 0x3eae86e6, v126
	v_fma_f32 v58, 0x3f5ff5aa, v58, -v125
	v_fma_f32 v162, 0xbeae86e6, v46, -v129
	;; [unrolled: 1-line block ×3, first 2 shown]
	v_add_f32_e32 v46, v72, v131
	v_sub_f32_e32 v47, v132, v71
	v_add_f32_e32 v48, v73, v55
	v_sub_f32_e32 v49, v59, v70
	v_sub_f32_e32 v50, v60, v56
	v_add_f32_e32 v51, v69, v63
	v_add_f32_e32 v52, v56, v60
	v_sub_f32_e32 v53, v63, v69
	v_sub_f32_e32 v54, v55, v73
	v_add_f32_e32 v55, v70, v59
	v_fmamk_f32 v59, v65, 0xbf955555, v36
	v_fmamk_f32 v60, v83, 0xbf955555, v37
	;; [unrolled: 1-line block ×4, first 2 shown]
	v_fma_f32 v64, 0xbf3bfb3b, v127, -v64
	v_fma_f32 v82, 0xbf3bfb3b, v128, -v82
	;; [unrolled: 1-line block ×3, first 2 shown]
	v_sub_f32_e32 v56, v131, v72
	v_add_f32_e32 v57, v71, v132
	v_fmac_f32_e32 v40, 0x3ee1c552, v80
	v_fmac_f32_e32 v41, 0x3ee1c552, v81
	;; [unrolled: 1-line block ×10, first 2 shown]
	v_add_f32_e32 v38, v66, v59
	v_add_f32_e32 v39, v67, v60
	;; [unrolled: 1-line block ×6, first 2 shown]
	ds_write2_b64 v159, v[42:43], v[46:47] offset1:68
	ds_write2_b64 v159, v[48:49], v[50:51] offset0:136 offset1:204
	ds_write2_b64 v78, v[52:53], v[54:55] offset0:16 offset1:84
	ds_write_b64 v159, v[56:57] offset:3264
	v_add_f32_e32 v54, v76, v63
	v_add_f32_e32 v55, v118, v65
	v_fmac_f32_e32 v120, 0x3ee1c552, v117
	v_fmac_f32_e32 v163, 0x3ee1c552, v117
	v_add_f32_e32 v50, v119, v63
	v_add_f32_e32 v51, v123, v65
	;; [unrolled: 1-line block ×5, first 2 shown]
	v_sub_f32_e32 v134, v60, v75
	v_sub_f32_e32 v251, v62, v136
	v_add_f32_e32 v252, v135, v66
	v_add_f32_e32 v253, v136, v62
	v_sub_f32_e32 v254, v66, v135
	v_sub_f32_e32 v211, v59, v61
	v_add_f32_e32 v212, v75, v60
	v_sub_f32_e32 v213, v38, v41
	v_add_f32_e32 v42, v161, v54
	;; [unrolled: 2-line block ×3, first 2 shown]
	v_add_f32_e32 v46, v163, v52
	v_sub_f32_e32 v47, v53, v162
	v_sub_f32_e32 v48, v50, v120
	v_add_f32_e32 v49, v58, v51
	v_add_f32_e32 v50, v120, v50
	v_sub_f32_e32 v51, v51, v58
	v_sub_f32_e32 v52, v52, v163
	v_add_f32_e32 v53, v162, v53
	v_sub_f32_e32 v54, v54, v161
	v_add_f32_e32 v55, v124, v55
	ds_write2_b64 v158, v[44:45], v[42:43] offset1:68
	ds_write2_b64 v158, v[46:47], v[48:49] offset0:136 offset1:204
	ds_write2_b64 v79, v[50:51], v[52:53] offset0:16 offset1:84
	ds_write_b64 v158, v[54:55] offset:3264
	s_and_saveexec_b32 s1, s0
	s_cbranch_execz .LBB0_11
; %bb.10:
	v_mov_b32_e32 v42, 3
	v_sub_f32_e32 v39, v39, v40
	v_add_f32_e32 v38, v41, v38
	v_lshlrev_b32_sdwa v42, v42, v142 dst_sel:DWORD dst_unused:UNUSED_PAD src0_sel:DWORD src1_sel:WORD_0
	v_add_nc_u32_e32 v40, 0x2800, v42
	v_add_nc_u32_e32 v41, 0x3000, v42
	ds_write2_b64 v40, v[36:37], v[38:39] offset0:148 offset1:216
	ds_write2_b64 v41, v[133:134], v[251:252] offset0:28 offset1:96
	;; [unrolled: 1-line block ×3, first 2 shown]
	ds_write_b64 v42, v[213:214] offset:14688
.LBB0_11:
	s_or_b32 exec_lo, exec_lo, s1
	v_mad_u64_u32 v[40:41], null, v140, 24, s[2:3]
	s_waitcnt lgkmcnt(0)
	s_barrier
	buffer_gl0_inv
	v_add_nc_u32_e32 v135, 0xc00, v141
	v_add_nc_u32_e32 v162, 0x1400, v141
	;; [unrolled: 1-line block ×3, first 2 shown]
	v_add_co_u32 v36, s1, 0x800, v40
	v_add_co_ci_u32_e64 v37, s1, 0, v41, s1
	v_add_co_u32 v42, s1, 0xe58, v40
	v_add_co_ci_u32_e64 v43, s1, 0, v41, s1
	v_add_nc_u32_e32 v161, 0x2c00, v141
	s_clause 0x1
	global_load_dwordx4 v[36:39], v[36:37], off offset:1624
	global_load_dwordx2 v[117:118], v[42:43], off offset:16
	v_add_co_u32 v42, s1, 0x1980, v40
	v_add_co_ci_u32_e64 v43, s1, 0, v41, s1
	v_add_co_u32 v44, s1, 0x1800, v40
	v_add_co_ci_u32_e64 v45, s1, 0, v41, s1
	;; [unrolled: 2-line block ×4, first 2 shown]
	s_clause 0x3
	global_load_dwordx4 v[48:51], v[44:45], off offset:384
	global_load_dwordx2 v[123:124], v[42:43], off offset:16
	global_load_dwordx4 v[44:47], v[46:47], off offset:1192
	global_load_dwordx2 v[121:122], v[52:53], off offset:16
	v_add_co_u32 v42, s1, 0x2800, v40
	v_add_co_ci_u32_e64 v43, s1, 0, v41, s1
	v_add_co_u32 v52, s1, 0x2fd0, v40
	v_add_co_ci_u32_e64 v53, s1, 0, v41, s1
	s_clause 0x1
	global_load_dwordx4 v[40:43], v[42:43], off offset:2000
	global_load_dwordx2 v[119:120], v[52:53], off offset:16
	v_add_nc_u32_e32 v163, 0x2400, v141
	v_add_nc_u32_e32 v164, 0x3000, v141
	ds_read2_b64 v[52:55], v135 offset0:92 offset1:211
	ds_read2_b64 v[56:59], v136 offset0:56 offset1:175
	ds_read2_b64 v[60:63], v161 offset0:20 offset1:139
	ds_read2_b64 v[64:67], v162 offset0:74 offset1:193
	v_add_nc_u32_e32 v165, 0x400, v141
	ds_read2_b64 v[68:71], v163 offset0:38 offset1:157
	ds_read2_b64 v[72:75], v164 offset0:130 offset1:249
	ds_read2_b64 v[76:79], v141 offset1:119
	ds_read2_b64 v[80:83], v165 offset0:110 offset1:229
	s_waitcnt vmcnt(7) lgkmcnt(7)
	v_mul_f32_e32 v166, v53, v37
	v_mul_f32_e32 v167, v52, v37
	s_waitcnt lgkmcnt(6)
	v_mul_f32_e32 v168, v57, v39
	v_mul_f32_e32 v169, v56, v39
	s_waitcnt vmcnt(6) lgkmcnt(5)
	v_mul_f32_e32 v170, v61, v118
	v_mul_f32_e32 v171, v60, v118
	v_fma_f32 v52, v52, v36, -v166
	v_fmac_f32_e32 v167, v53, v36
	v_fma_f32 v53, v56, v38, -v168
	v_fmac_f32_e32 v169, v57, v38
	;; [unrolled: 2-line block ×3, first 2 shown]
	s_waitcnt lgkmcnt(1)
	v_sub_f32_e32 v53, v76, v53
	s_waitcnt vmcnt(5)
	v_mul_f32_e32 v172, v55, v49
	v_mul_f32_e32 v173, v54, v49
	;; [unrolled: 1-line block ×4, first 2 shown]
	s_waitcnt vmcnt(4)
	v_mul_f32_e32 v176, v63, v124
	v_mul_f32_e32 v177, v62, v124
	s_waitcnt vmcnt(3)
	v_mul_f32_e32 v178, v65, v45
	v_mul_f32_e32 v179, v64, v45
	;; [unrolled: 1-line block ×4, first 2 shown]
	s_waitcnt vmcnt(2)
	v_mul_f32_e32 v182, v73, v122
	v_mul_f32_e32 v183, v72, v122
	v_fma_f32 v54, v54, v48, -v172
	s_waitcnt vmcnt(1)
	v_mul_f32_e32 v184, v67, v41
	v_mul_f32_e32 v185, v66, v41
	v_mul_f32_e32 v186, v71, v43
	v_mul_f32_e32 v187, v70, v43
	s_waitcnt vmcnt(0)
	v_mul_f32_e32 v188, v75, v120
	v_mul_f32_e32 v189, v74, v120
	v_fmac_f32_e32 v173, v55, v48
	v_fma_f32 v55, v58, v50, -v174
	v_fmac_f32_e32 v175, v59, v50
	v_fma_f32 v57, v62, v123, -v176
	;; [unrolled: 2-line block ×8, first 2 shown]
	v_fmac_f32_e32 v189, v75, v119
	v_sub_f32_e32 v64, v77, v169
	v_sub_f32_e32 v56, v52, v56
	;; [unrolled: 1-line block ×7, first 2 shown]
	s_waitcnt lgkmcnt(0)
	v_sub_f32_e32 v59, v80, v59
	v_sub_f32_e32 v169, v81, v181
	v_sub_f32_e32 v60, v58, v60
	v_sub_f32_e32 v66, v179, v183
	v_sub_f32_e32 v170, v82, v62
	v_sub_f32_e32 v171, v83, v187
	v_sub_f32_e32 v62, v61, v63
	v_sub_f32_e32 v63, v185, v189
	v_fma_f32 v76, v76, 2.0, -v53
	v_fma_f32 v77, v77, 2.0, -v64
	;; [unrolled: 1-line block ×4, first 2 shown]
	v_sub_f32_e32 v70, v53, v65
	v_add_f32_e32 v71, v64, v56
	v_fma_f32 v56, v78, 2.0, -v166
	v_fma_f32 v167, v79, 2.0, -v168
	;; [unrolled: 1-line block ×4, first 2 shown]
	v_sub_f32_e32 v74, v166, v57
	v_fma_f32 v57, v80, 2.0, -v59
	v_fma_f32 v81, v81, 2.0, -v169
	;; [unrolled: 1-line block ×4, first 2 shown]
	v_add_f32_e32 v67, v169, v60
	v_fma_f32 v172, v82, 2.0, -v170
	v_fma_f32 v173, v83, 2.0, -v171
	;; [unrolled: 1-line block ×4, first 2 shown]
	v_add_f32_e32 v75, v168, v55
	v_sub_f32_e32 v66, v59, v66
	v_sub_f32_e32 v54, v170, v63
	v_add_f32_e32 v55, v171, v62
	v_sub_f32_e32 v68, v76, v52
	v_sub_f32_e32 v69, v77, v69
	v_fma_f32 v62, v53, 2.0, -v70
	v_fma_f32 v63, v64, 2.0, -v71
	v_sub_f32_e32 v72, v56, v65
	v_sub_f32_e32 v73, v167, v73
	;; [unrolled: 1-line block ×6, first 2 shown]
	v_fma_f32 v78, v166, 2.0, -v74
	v_fma_f32 v79, v168, 2.0, -v75
	;; [unrolled: 1-line block ×14, first 2 shown]
	ds_write2_b64 v161, v[70:71], v[74:75] offset0:20 offset1:139
	ds_write2_b64 v164, v[66:67], v[54:55] offset0:130 offset1:249
	;; [unrolled: 1-line block ×6, first 2 shown]
	ds_write2_b64 v141, v[60:61], v[76:77] offset1:119
	ds_write2_b64 v165, v[80:81], v[56:57] offset0:110 offset1:229
	s_waitcnt lgkmcnt(0)
	s_barrier
	buffer_gl0_inv
	s_and_saveexec_b32 s8, vcc_lo
	s_cbranch_execz .LBB0_13
; %bb.12:
	s_add_u32 s2, s12, 0x3b80
	s_addc_u32 s3, s13, 0
	v_add_co_u32 v170, s1, s2, v138
	global_load_dwordx2 v[135:136], v138, s[2:3]
	v_add_co_ci_u32_e64 v171, null, s3, 0, s1
	v_add_co_u32 v161, s1, 0x800, v170
	s_clause 0x1
	global_load_dwordx2 v[193:194], v138, s[2:3] offset:896
	global_load_dwordx2 v[195:196], v138, s[2:3] offset:1792
	v_add_co_ci_u32_e64 v162, s1, 0, v171, s1
	v_add_co_u32 v163, s1, 0x1000, v170
	v_add_co_ci_u32_e64 v164, s1, 0, v171, s1
	v_add_co_u32 v165, s1, 0x1800, v170
	;; [unrolled: 2-line block ×3, first 2 shown]
	v_add_co_ci_u32_e64 v168, s1, 0, v171, s1
	s_clause 0x4
	global_load_dwordx2 v[197:198], v[161:162], off offset:640
	global_load_dwordx2 v[199:200], v[161:162], off offset:1536
	;; [unrolled: 1-line block ×5, first 2 shown]
	v_add_co_u32 v161, s1, 0x2800, v170
	v_or_b32_e32 v169, 0x1c00, v138
	v_add_co_ci_u32_e64 v162, s1, 0, v171, s1
	v_mov_b32_e32 v86, v211
	v_mov_b32_e32 v125, v213
	s_clause 0x1
	global_load_dwordx2 v[207:208], v169, s[2:3]
	global_load_dwordx2 v[209:210], v[167:168], off offset:768
	v_mov_b32_e32 v87, v212
	global_load_dwordx2 v[211:212], v[165:166], off offset:1920
	v_mov_b32_e32 v126, v214
	global_load_dwordx2 v[213:214], v[167:168], off offset:1664
	v_add_co_u32 v163, s1, 0x3000, v170
	s_clause 0x1
	global_load_dwordx2 v[215:216], v[161:162], off offset:512
	global_load_dwordx2 v[217:218], v[161:162], off offset:1408
	v_add_co_ci_u32_e64 v164, s1, 0, v171, s1
	v_or_b32_e32 v161, 0x3800, v138
	s_clause 0x2
	global_load_dwordx2 v[219:220], v[163:164], off offset:256
	global_load_dwordx2 v[221:222], v[163:164], off offset:1152
	global_load_dwordx2 v[223:224], v161, s[2:3]
	ds_read_b64 v[161:162], v141
	v_add_nc_u32_e32 v225, 0x800, v138
	v_add_nc_u32_e32 v226, 0x1000, v138
	;; [unrolled: 1-line block ×7, first 2 shown]
	s_waitcnt vmcnt(16) lgkmcnt(0)
	v_mul_f32_e32 v163, v162, v136
	v_mul_f32_e32 v164, v161, v136
	v_fma_f32 v163, v161, v135, -v163
	v_fmac_f32_e32 v164, v162, v135
	ds_write_b64 v141, v[163:164]
	ds_read2_b64 v[161:164], v138 offset0:112 offset1:224
	ds_read2_b64 v[165:168], v225 offset0:80 offset1:192
	;; [unrolled: 1-line block ×8, first 2 shown]
	s_waitcnt vmcnt(15) lgkmcnt(7)
	v_mul_f32_e32 v135, v162, v194
	v_mul_f32_e32 v136, v161, v194
	s_waitcnt vmcnt(14)
	v_mul_f32_e32 v232, v164, v196
	v_mul_f32_e32 v194, v163, v196
	s_waitcnt vmcnt(13) lgkmcnt(6)
	v_mul_f32_e32 v233, v166, v198
	v_mul_f32_e32 v196, v165, v198
	s_waitcnt vmcnt(12)
	v_mul_f32_e32 v234, v168, v200
	v_mul_f32_e32 v198, v167, v200
	;; [unrolled: 6-line block ×4, first 2 shown]
	s_waitcnt vmcnt(6) lgkmcnt(3)
	v_mul_f32_e32 v239, v178, v212
	v_mul_f32_e32 v208, v177, v212
	;; [unrolled: 1-line block ×4, first 2 shown]
	s_waitcnt vmcnt(5) lgkmcnt(2)
	v_mul_f32_e32 v241, v182, v214
	v_mul_f32_e32 v210, v181, v214
	s_waitcnt vmcnt(4)
	v_mul_f32_e32 v242, v184, v216
	v_mul_f32_e32 v214, v183, v216
	v_fma_f32 v135, v161, v193, -v135
	v_fmac_f32_e32 v136, v162, v193
	v_fma_f32 v193, v163, v195, -v232
	v_fmac_f32_e32 v194, v164, v195
	;; [unrolled: 2-line block ×12, first 2 shown]
	s_waitcnt vmcnt(3) lgkmcnt(1)
	v_mul_f32_e32 v243, v186, v218
	v_mul_f32_e32 v216, v185, v218
	s_waitcnt vmcnt(2)
	v_mul_f32_e32 v244, v188, v220
	v_mul_f32_e32 v218, v187, v220
	s_waitcnt vmcnt(1) lgkmcnt(0)
	v_mul_f32_e32 v245, v190, v222
	v_mul_f32_e32 v220, v189, v222
	s_waitcnt vmcnt(0)
	v_mul_f32_e32 v246, v192, v224
	v_mul_f32_e32 v222, v191, v224
	ds_write2_b64 v138, v[135:136], v[193:194] offset0:112 offset1:224
	ds_write2_b64 v225, v[195:196], v[197:198] offset0:80 offset1:192
	;; [unrolled: 1-line block ×5, first 2 shown]
	v_mov_b32_e32 v212, v87
	ds_write2_b64 v229, v[209:210], v[213:214] offset0:80 offset1:192
	v_mov_b32_e32 v214, v126
	v_fma_f32 v215, v185, v217, -v243
	v_fmac_f32_e32 v216, v186, v217
	v_fma_f32 v217, v187, v219, -v244
	v_fmac_f32_e32 v218, v188, v219
	v_mov_b32_e32 v211, v86
	v_mov_b32_e32 v213, v125
	v_fma_f32 v219, v189, v221, -v245
	v_fmac_f32_e32 v220, v190, v221
	v_fma_f32 v221, v191, v223, -v246
	v_fmac_f32_e32 v222, v192, v223
	ds_write2_b64 v230, v[215:216], v[217:218] offset0:48 offset1:160
	ds_write2_b64 v231, v[219:220], v[221:222] offset0:16 offset1:128
.LBB0_13:
	s_or_b32 exec_lo, exec_lo, s8
	s_waitcnt lgkmcnt(0)
	s_barrier
	buffer_gl0_inv
	s_and_saveexec_b32 s1, vcc_lo
	s_cbranch_execz .LBB0_15
; %bb.14:
	v_add_nc_u32_e32 v52, 0x400, v141
	v_add_nc_u32_e32 v53, 0xc00, v141
	;; [unrolled: 1-line block ×3, first 2 shown]
	ds_read2_b64 v[60:63], v141 offset1:112
	v_add_nc_u32_e32 v55, 0x2800, v141
	ds_read2_b64 v[68:71], v52 offset0:96 offset1:208
	ds_read2_b64 v[76:79], v53 offset0:64 offset1:176
	v_add_nc_u32_e32 v52, 0x1800, v141
	v_add_nc_u32_e32 v53, 0x2000, v141
	;; [unrolled: 1-line block ×3, first 2 shown]
	ds_read2_b64 v[72:75], v54 offset0:32 offset1:144
	ds_read2_b64 v[80:83], v52 offset0:128 offset1:240
	;; [unrolled: 1-line block ×5, first 2 shown]
	ds_read_b64 v[133:134], v141 offset:14336
.LBB0_15:
	s_or_b32 exec_lo, exec_lo, s1
	s_waitcnt lgkmcnt(0)
	v_sub_f32_e32 v205, v63, v134
	v_add_f32_e32 v206, v134, v63
	v_add_f32_e32 v203, v133, v62
	v_sub_f32_e32 v207, v62, v133
	v_sub_f32_e32 v196, v69, v55
	v_mul_f32_e32 v204, 0xbeb8f4ab, v205
	v_mul_f32_e32 v208, 0x3f6eb680, v206
	v_add_f32_e32 v179, v55, v69
	v_add_f32_e32 v161, v54, v68
	v_sub_f32_e32 v90, v68, v54
	v_fma_f32 v135, 0x3f6eb680, v203, -v204
	v_fmamk_f32 v136, v207, 0xbeb8f4ab, v208
	v_mul_f32_e32 v84, 0xbf2c7751, v196
	v_mul_f32_e32 v86, 0x3f3d2fb0, v179
	v_sub_f32_e32 v197, v71, v53
	v_add_f32_e32 v186, v53, v71
	v_add_f32_e32 v135, v60, v135
	v_add_f32_e32 v136, v61, v136
	v_fma_f32 v167, 0x3f3d2fb0, v161, -v84
	v_fmamk_f32 v170, v90, 0xbf2c7751, v86
	v_add_f32_e32 v165, v52, v70
	v_mul_f32_e32 v87, 0xbf65296c, v197
	v_sub_f32_e32 v180, v70, v52
	v_mul_f32_e32 v183, 0x3ee437d1, v186
	v_sub_f32_e32 v198, v77, v59
	v_add_f32_e32 v189, v59, v77
	v_add_f32_e32 v135, v167, v135
	v_add_f32_e32 v136, v170, v136
	v_fma_f32 v170, 0x3ee437d1, v165, -v87
	v_fmamk_f32 v171, v180, 0xbf65296c, v183
	v_add_f32_e32 v172, v58, v76
	v_sub_f32_e32 v191, v76, v58
	v_mul_f32_e32 v175, 0xbf7ee86f, v198
	v_mul_f32_e32 v132, 0x3dbcf732, v189
	v_sub_f32_e32 v199, v79, v57
	v_add_f32_e32 v192, v57, v79
	v_add_f32_e32 v135, v170, v135
	v_add_f32_e32 v136, v171, v136
	v_fma_f32 v171, 0x3dbcf732, v172, -v175
	v_fmamk_f32 v174, v191, 0xbf7ee86f, v132
	v_add_f32_e32 v173, v56, v78
	v_mul_f32_e32 v188, 0xbf763a35, v199
	v_sub_f32_e32 v163, v78, v56
	v_mul_f32_e32 v162, 0xbe8c1d8e, v192
	v_sub_f32_e32 v200, v73, v67
	v_add_f32_e32 v194, v67, v73
	v_add_f32_e32 v135, v171, v135
	v_add_f32_e32 v136, v174, v136
	v_fma_f32 v177, 0xbe8c1d8e, v173, -v188
	v_fmamk_f32 v181, v163, 0xbf763a35, v162
	v_add_f32_e32 v182, v66, v72
	v_sub_f32_e32 v166, v72, v66
	;; [unrolled: 20-line block ×3, first 2 shown]
	v_mul_f32_e32 v92, 0xbe3c28d5, v202
	v_mul_f32_e32 v91, 0xbf7ba420, v193
	v_add_f32_e32 v135, v209, v135
	v_add_f32_e32 v136, v210, v136
	v_fma_f32 v209, 0xbf7ba420, v190, -v92
	v_fmamk_f32 v210, v94, 0xbe3c28d5, v91
	s_barrier
	buffer_gl0_inv
	v_add_f32_e32 v135, v209, v135
	v_add_f32_e32 v136, v210, v136
	s_and_saveexec_b32 s1, vcc_lo
	s_cbranch_execz .LBB0_17
; %bb.16:
	v_add_f32_e32 v62, v62, v60
	v_add_f32_e32 v63, v63, v61
	buffer_store_dword v86, off, s[16:19], 0 offset:88 ; 4-byte Folded Spill
	buffer_store_dword v87, off, s[16:19], 0 offset:84 ; 4-byte Folded Spill
	v_mov_b32_e32 v86, v211
	v_mov_b32_e32 v87, v212
	v_add_f32_e32 v62, v68, v62
	v_add_f32_e32 v63, v69, v63
	v_mul_f32_e32 v68, 0xbe3c28d5, v207
	v_mul_f32_e32 v69, 0xbf06c442, v207
	;; [unrolled: 1-line block ×3, first 2 shown]
	v_add_f32_e32 v62, v70, v62
	v_add_f32_e32 v63, v71, v63
	v_mul_f32_e32 v70, 0xbf4c4adb, v207
	v_fmamk_f32 v71, v206, 0xbf7ba420, v68
	v_fma_f32 v68, 0xbf7ba420, v206, -v68
	v_add_f32_e32 v62, v76, v62
	v_add_f32_e32 v63, v77, v63
	v_mul_f32_e32 v76, 0xbf7ee86f, v207
	v_fma_f32 v212, 0xbf59a7d5, v203, -v209
	v_add_f32_e32 v68, v61, v68
	v_add_f32_e32 v62, v78, v62
	v_add_f32_e32 v63, v79, v63
	v_mul_f32_e32 v78, 0xbf65296c, v207
	v_fmac_f32_e32 v209, 0xbf59a7d5, v203
	buffer_store_dword v68, off, s[16:19], 0 offset:136 ; 4-byte Folded Spill
	v_add_f32_e32 v62, v72, v62
	v_add_f32_e32 v63, v73, v63
	v_fmamk_f32 v72, v206, 0xbf59a7d5, v69
	v_fma_f32 v69, 0xbf59a7d5, v206, -v69
	v_fmamk_f32 v73, v206, 0xbf1a4643, v70
	v_add_f32_e32 v62, v74, v62
	v_mul_f32_e32 v74, 0xbf763a35, v207
	v_add_f32_e32 v63, v75, v63
	v_fma_f32 v70, 0xbf1a4643, v206, -v70
	v_fmamk_f32 v77, v206, 0x3dbcf732, v76
	v_add_f32_e32 v62, v80, v62
	v_mul_f32_e32 v80, 0xbf2c7751, v207
	v_add_f32_e32 v63, v81, v63
	v_fmamk_f32 v75, v206, 0xbe8c1d8e, v74
	v_fma_f32 v74, 0xbe8c1d8e, v206, -v74
	v_add_f32_e32 v62, v82, v62
	v_mul_f32_e32 v82, 0xbeb8f4ab, v207
	v_mul_f32_e32 v207, 0xbe3c28d5, v205
	v_add_f32_e32 v63, v83, v63
	v_fma_f32 v76, 0x3dbcf732, v206, -v76
	v_fmamk_f32 v79, v206, 0x3ee437d1, v78
	v_fma_f32 v78, 0x3ee437d1, v206, -v78
	v_fma_f32 v211, 0xbf7ba420, v203, -v207
	v_fmac_f32_e32 v207, 0xbf7ba420, v203
	v_fmamk_f32 v81, v206, 0x3f3d2fb0, v80
	v_fma_f32 v80, 0x3f3d2fb0, v206, -v80
	v_sub_f32_e32 v82, v208, v82
	v_mul_f32_e32 v83, 0xbf2c7751, v205
	v_add_f32_e32 v68, v60, v207
	v_mul_f32_e32 v206, 0xbf65296c, v205
	v_mul_f32_e32 v208, 0xbf7ee86f, v205
	;; [unrolled: 1-line block ×4, first 2 shown]
	buffer_store_dword v68, off, s[16:19], 0 offset:132 ; 4-byte Folded Spill
	v_add_f32_e32 v68, v61, v69
	v_mov_b32_e32 v225, v89
	v_mov_b32_e32 v224, v88
	;; [unrolled: 1-line block ×4, first 2 shown]
	buffer_store_dword v68, off, s[16:19], 0 offset:172 ; 4-byte Folded Spill
	v_add_f32_e32 v68, v60, v209
	v_mov_b32_e32 v250, v214
	v_mov_b32_e32 v249, v213
	v_fma_f32 v213, 0xbf1a4643, v203, -v205
	v_fmac_f32_e32 v205, 0xbf1a4643, v203
	buffer_store_dword v68, off, s[16:19], 0 offset:168 ; 4-byte Folded Spill
	v_add_f32_e32 v68, v61, v70
	v_fma_f32 v214, 0xbe8c1d8e, v203, -v210
	v_fmac_f32_e32 v210, 0xbe8c1d8e, v203
	v_fma_f32 v215, 0x3dbcf732, v203, -v208
	v_fmac_f32_e32 v208, 0x3dbcf732, v203
	buffer_store_dword v68, off, s[16:19], 0 offset:128 ; 4-byte Folded Spill
	v_add_f32_e32 v68, v60, v205
	v_fma_f32 v216, 0x3ee437d1, v203, -v206
	v_fmac_f32_e32 v206, 0x3ee437d1, v203
	v_fma_f32 v217, 0x3f3d2fb0, v203, -v83
	v_fmac_f32_e32 v83, 0x3f3d2fb0, v203
	buffer_store_dword v68, off, s[16:19], 0 offset:124 ; 4-byte Folded Spill
	v_add_f32_e32 v68, v61, v74
	v_mul_f32_e32 v203, 0x3f6eb680, v203
	v_add_f32_e32 v216, v60, v216
	v_add_f32_e32 v215, v60, v215
	v_add_f32_e32 v214, v60, v214
	buffer_store_dword v68, off, s[16:19], 0 offset:160 ; 4-byte Folded Spill
	v_add_f32_e32 v68, v60, v210
	v_add_f32_e32 v203, v203, v204
	v_add_f32_e32 v204, v60, v217
	v_add_f32_e32 v213, v60, v213
	v_add_f32_e32 v212, v60, v212
	buffer_store_dword v68, off, s[16:19], 0 offset:156 ; 4-byte Folded Spill
	v_add_f32_e32 v68, v61, v76
	v_add_f32_e32 v211, v60, v211
	v_add_f32_e32 v81, v61, v81
	v_add_f32_e32 v79, v61, v79
	v_add_f32_e32 v77, v61, v77
	buffer_store_dword v68, off, s[16:19], 0 offset:120 ; 4-byte Folded Spill
	v_add_f32_e32 v68, v60, v208
	v_add_f32_e32 v75, v61, v75
	v_add_f32_e32 v73, v61, v73
	v_add_f32_e32 v72, v61, v72
	;; [unrolled: 1-line block ×3, first 2 shown]
	buffer_store_dword v68, off, s[16:19], 0 offset:116 ; 4-byte Folded Spill
	v_add_f32_e32 v68, v61, v78
	v_mul_f32_e32 v207, 0xbe3c28d5, v191
	v_mul_f32_e32 v209, 0x3f06c442, v163
	;; [unrolled: 1-line block ×4, first 2 shown]
	buffer_store_dword v68, off, s[16:19], 0 offset:144 ; 4-byte Folded Spill
	v_add_f32_e32 v68, v60, v206
	v_mul_f32_e32 v208, 0x3f65296c, v93
	v_mul_f32_e32 v231, 0xbf4c4adb, v197
	;; [unrolled: 1-line block ×4, first 2 shown]
	buffer_store_dword v68, off, s[16:19], 0 offset:140 ; 4-byte Folded Spill
	v_add_f32_e32 v68, v61, v80
	v_add_f32_e32 v61, v61, v82
	v_mul_f32_e32 v82, 0xbf7ee86f, v90
	v_mul_f32_e32 v234, 0x3f763a35, v200
	;; [unrolled: 1-line block ×3, first 2 shown]
	buffer_store_dword v68, off, s[16:19], 0 offset:112 ; 4-byte Folded Spill
	v_add_f32_e32 v68, v60, v83
	v_add_f32_e32 v60, v60, v203
	buffer_store_dword v61, off, s[16:19], 0 offset:104 ; 4-byte Folded Spill
	v_add_f32_e32 v61, v64, v62
	v_mul_f32_e32 v83, 0xbf4c4adb, v180
	v_fmamk_f32 v62, v195, 0x3ee437d1, v208
	buffer_store_dword v60, off, s[16:19], 0 offset:100 ; 4-byte Folded Spill
	v_add_f32_e32 v60, v65, v63
	v_mul_f32_e32 v237, 0x3eb8f4ab, v202
	v_mul_f32_e32 v80, 0xbf4c4adb, v90
	;; [unrolled: 1-line block ×4, first 2 shown]
	v_add_f32_e32 v60, v67, v60
	v_mul_f32_e32 v240, 0xbeb8f4ab, v166
	v_mul_f32_e32 v241, 0xbf4c4adb, v196
	;; [unrolled: 1-line block ×4, first 2 shown]
	buffer_store_dword v60, off, s[16:19], 0 offset:92 ; 4-byte Folded Spill
	v_add_f32_e32 v60, v66, v61
	v_fmamk_f32 v61, v186, 0xbf1a4643, v83
	v_mul_f32_e32 v244, 0x3f2c7751, v199
	v_mul_f32_e32 v245, 0xbeb8f4ab, v200
	;; [unrolled: 1-line block ×3, first 2 shown]
	buffer_store_dword v60, off, s[16:19], 0 offset:96 ; 4-byte Folded Spill
	v_fmamk_f32 v60, v179, 0x3dbcf732, v82
	buffer_store_dword v85, off, s[16:19], 0 offset:80 ; 4-byte Folded Spill
	v_mov_b32_e32 v85, v247
	v_mul_f32_e32 v247, 0xbf06c442, v94
	v_mul_f32_e32 v248, 0xbf06c442, v202
	v_add_f32_e32 v60, v60, v81
	v_mul_f32_e32 v81, 0x3e3c28d5, v180
	v_mul_f32_e32 v168, 0xbe3c28d5, v90
	;; [unrolled: 1-line block ×3, first 2 shown]
	buffer_store_dword v68, off, s[16:19], 0 offset:108 ; 4-byte Folded Spill
	v_add_f32_e32 v60, v61, v60
	v_fmamk_f32 v61, v189, 0xbf7ba420, v207
	v_fmamk_f32 v63, v186, 0xbf7ba420, v81
	buffer_store_dword v251, off, s[16:19], 0 offset:64 ; 4-byte Folded Spill
	buffer_store_dword v252, off, s[16:19], 0 offset:68 ; 4-byte Folded Spill
	v_fmamk_f32 v67, v186, 0xbe8c1d8e, v226
	v_mul_f32_e32 v251, 0x3eb8f4ab, v191
	v_add_f32_e32 v60, v61, v60
	v_fmamk_f32 v61, v192, 0xbf59a7d5, v209
	v_mul_f32_e32 v252, 0xbf65296c, v163
	buffer_store_dword v253, off, s[16:19], 0 offset:72 ; 4-byte Folded Spill
	buffer_store_dword v254, off, s[16:19], 0 offset:76 ; 4-byte Folded Spill
	v_mul_f32_e32 v253, 0xbf06c442, v166
	v_mul_f32_e32 v254, 0xbe3c28d5, v196
	v_add_f32_e32 v60, v61, v60
	v_fmamk_f32 v61, v194, 0xbe8c1d8e, v210
	v_mul_f32_e32 v255, 0x3f763a35, v197
	buffer_store_dword v137, off, s[16:19], 0 offset:24 ; 4-byte Folded Spill
	v_mul_f32_e32 v137, 0x3eb8f4ab, v198
	buffer_store_dword v139, off, s[16:19], 0 offset:40 ; 4-byte Folded Spill
	v_add_f32_e32 v60, v61, v60
	v_fma_f32 v61, 0x3dbcf732, v161, -v230
	v_mul_f32_e32 v139, 0xbf65296c, v199
	buffer_store_dword v143, off, s[16:19], 0 offset:36 ; 4-byte Folded Spill
	v_mul_f32_e32 v143, 0xbf06c442, v200
	v_add_f32_e32 v60, v62, v60
	v_add_f32_e32 v61, v61, v204
	v_fma_f32 v62, 0xbf1a4643, v165, -v231
	buffer_store_dword v144, off, s[16:19], 0 offset:44 ; 4-byte Folded Spill
	v_mul_f32_e32 v144, 0x3f4c4adb, v201
	buffer_store_dword v145, off, s[16:19], 0 offset:32 ; 4-byte Folded Spill
	v_mul_f32_e32 v145, 0x3f2c7751, v94
	v_add_f32_e32 v61, v62, v61
	v_fma_f32 v62, 0xbf7ba420, v172, -v232
	buffer_store_dword v146, off, s[16:19], 0 offset:28 ; 4-byte Folded Spill
	v_mul_f32_e32 v146, 0x3f2c7751, v202
	v_mul_f32_e32 v78, 0x3f06c442, v90
	buffer_store_dword v147, off, s[16:19], 0 offset:52 ; 4-byte Folded Spill
	v_add_f32_e32 v61, v62, v61
	v_fma_f32 v62, 0xbf59a7d5, v173, -v233
	v_mul_f32_e32 v147, 0xbf65296c, v191
	buffer_store_dword v148, off, s[16:19], 0 offset:60 ; 4-byte Folded Spill
	v_mul_f32_e32 v148, 0xbe3c28d5, v163
	buffer_store_dword v149, off, s[16:19], 0 offset:48 ; 4-byte Folded Spill
	v_add_f32_e32 v61, v62, v61
	v_fma_f32 v62, 0xbe8c1d8e, v182, -v234
	v_mul_f32_e32 v149, 0x3f7ee86f, v166
	buffer_store_dword v150, off, s[16:19], 0 offset:56 ; 4-byte Folded Spill
	v_mul_f32_e32 v150, 0x3f06c442, v196
	v_mov_b32_e32 v220, v151
	v_add_f32_e32 v61, v62, v61
	v_fma_f32 v62, 0x3ee437d1, v187, -v235
	v_mul_f32_e32 v151, 0x3f2c7751, v197
	v_mov_b32_e32 v218, v152
	v_mul_f32_e32 v152, 0xbf65296c, v198
	v_mov_b32_e32 v223, v153
	v_add_f32_e32 v62, v62, v61
	v_mul_f32_e32 v61, 0x3eb8f4ab, v94
	v_mul_f32_e32 v153, 0xbe3c28d5, v199
	v_mov_b32_e32 v221, v154
	v_mul_f32_e32 v154, 0x3f7ee86f, v200
	v_mov_b32_e32 v219, v155
	v_fmamk_f32 v61, v193, 0x3f6eb680, v61
	v_mul_f32_e32 v155, 0xbeb8f4ab, v201
	v_mov_b32_e32 v236, v156
	v_mul_f32_e32 v156, 0xbf4c4adb, v94
	v_mov_b32_e32 v229, v157
	v_add_f32_e32 v204, v61, v60
	v_fma_f32 v60, 0x3f6eb680, v190, -v237
	v_mul_f32_e32 v157, 0xbf4c4adb, v202
	v_mov_b32_e32 v228, v158
	v_mul_f32_e32 v158, 0x3f763a35, v90
	buffer_store_dword v84, off, s[16:19], 0 offset:176 ; 4-byte Folded Spill
	v_add_f32_e32 v203, v60, v62
	v_fmamk_f32 v62, v179, 0xbf1a4643, v80
	v_mul_f32_e32 v84, 0xbeb8f4ab, v180
	v_mov_b32_e32 v222, v142
	v_mul_f32_e32 v142, 0xbf06c442, v191
	buffer_store_dword v162, off, s[16:19], 0 offset:164 ; 4-byte Folded Spill
	v_add_f32_e32 v62, v62, v79
	v_mul_f32_e32 v79, 0x3f2c7751, v180
	v_fmamk_f32 v71, v186, 0x3f6eb680, v84
	v_mul_f32_e32 v162, 0x3f7ee86f, v163
	buffer_store_dword v164, off, s[16:19], 0 offset:152 ; 4-byte Folded Spill
	v_add_f32_e32 v62, v63, v62
	v_fmamk_f32 v63, v189, 0xbe8c1d8e, v238
	v_fmamk_f32 v69, v186, 0x3f3d2fb0, v79
	v_mul_f32_e32 v164, 0xbf2c7751, v166
	buffer_store_dword v92, off, s[16:19], 0 offset:148 ; 4-byte Folded Spill
	v_mov_b32_e32 v92, v91
	v_add_f32_e32 v62, v63, v62
	v_fmamk_f32 v63, v192, 0x3f3d2fb0, v239
	v_mov_b32_e32 v91, v166
	v_mul_f32_e32 v166, 0x3f763a35, v196
	v_mul_f32_e32 v167, 0xbeb8f4ab, v197
	;; [unrolled: 1-line block ×3, first 2 shown]
	v_add_f32_e32 v62, v63, v62
	v_fmamk_f32 v63, v194, 0x3f6eb680, v240
	v_mul_f32_e32 v170, 0x3f7ee86f, v199
	v_mul_f32_e32 v171, 0xbf2c7751, v200
	;; [unrolled: 1-line block ×4, first 2 shown]
	v_add_f32_e32 v62, v63, v62
	v_fma_f32 v63, 0xbf1a4643, v161, -v241
	v_mul_f32_e32 v177, 0x3f65296c, v202
	v_mul_f32_e32 v76, 0x3f65296c, v90
	;; [unrolled: 1-line block ×4, first 2 shown]
	v_add_f32_e32 v63, v63, v216
	v_mul_f32_e32 v216, 0xbf7ee86f, v93
	v_mul_f32_e32 v184, 0xbe3c28d5, v91
	;; [unrolled: 1-line block ×3, first 2 shown]
	v_mov_b32_e32 v227, v159
	v_mul_f32_e32 v159, 0xbf7ee86f, v197
	v_fmamk_f32 v66, v195, 0x3dbcf732, v216
	buffer_store_dword v160, off, s[16:19], 0 offset:180 ; 4-byte Folded Spill
	v_mul_f32_e32 v160, 0x3f4c4adb, v198
	v_mov_b32_e32 v206, v140
	v_mul_f32_e32 v140, 0xbeb8f4ab, v199
	v_add_f32_e32 v62, v66, v62
	v_fma_f32 v66, 0xbf7ba420, v165, -v242
	v_mov_b32_e32 v205, v138
	v_mul_f32_e32 v138, 0xbe3c28d5, v200
	v_mul_f32_e32 v125, 0x3f2c7751, v201
	;; [unrolled: 1-line block ×3, first 2 shown]
	v_add_f32_e32 v63, v66, v63
	v_fma_f32 v66, 0xbe8c1d8e, v172, -v243
	v_mul_f32_e32 v127, 0xbf763a35, v202
	v_mul_f32_e32 v128, 0x3eb8f4ab, v90
	v_mov_b32_e32 v65, v129
	v_mul_f32_e32 v129, 0x3f2c7751, v191
	v_add_f32_e32 v63, v66, v63
	v_fma_f32 v66, 0x3f3d2fb0, v173, -v244
	v_mov_b32_e32 v64, v130
	v_mul_f32_e32 v130, 0xbf4c4adb, v163
	v_mul_f32_e32 v131, 0x3f65296c, v91
	v_mov_b32_e32 v61, v132
	v_add_f32_e32 v63, v66, v63
	v_fma_f32 v66, 0x3f6eb680, v182, -v245
	v_mul_f32_e32 v132, 0x3eb8f4ab, v196
	v_mul_f32_e32 v196, 0xbf763a35, v93
	;; [unrolled: 1-line block ×4, first 2 shown]
	v_add_f32_e32 v63, v66, v63
	v_fma_f32 v66, 0x3dbcf732, v187, -v246
	v_mul_f32_e32 v199, 0xbf4c4adb, v199
	v_mul_f32_e32 v200, 0x3f65296c, v200
	;; [unrolled: 1-line block ×3, first 2 shown]
	v_mov_b32_e32 v60, v163
	v_add_f32_e32 v66, v66, v63
	v_fmamk_f32 v63, v193, 0xbf59a7d5, v247
	v_mul_f32_e32 v163, 0x3f7ee86f, v94
	v_mul_f32_e32 v202, 0x3f7ee86f, v202
	v_fma_f32 v80, 0xbf1a4643, v179, -v80
	v_fma_f32 v81, 0xbf7ba420, v186, -v81
	v_add_f32_e32 v63, v63, v62
	v_fma_f32 v62, 0xbf59a7d5, v190, -v248
	v_fma_f32 v79, 0x3f3d2fb0, v186, -v79
	v_fmac_f32_e32 v241, 0xbf1a4643, v161
	v_fmac_f32_e32 v242, 0xbf7ba420, v165
	v_fmac_f32_e32 v243, 0xbe8c1d8e, v172
	v_add_f32_e32 v62, v62, v66
	v_fmamk_f32 v66, v179, 0xbf7ba420, v168
	v_fmac_f32_e32 v244, 0x3f3d2fb0, v173
	v_fmac_f32_e32 v245, 0x3f6eb680, v182
	;; [unrolled: 1-line block ×4, first 2 shown]
	v_add_f32_e32 v66, v66, v77
	v_mul_f32_e32 v77, 0xbf7ee86f, v180
	v_fma_f32 v84, 0x3f6eb680, v186, -v84
	v_fmac_f32_e32 v230, 0x3dbcf732, v161
	v_fmac_f32_e32 v231, 0xbf1a4643, v165
	v_add_f32_e32 v66, v67, v66
	v_fmamk_f32 v67, v189, 0x3f6eb680, v251
	v_fmac_f32_e32 v232, 0xbf7ba420, v172
	v_fmac_f32_e32 v233, 0xbf59a7d5, v173
	;; [unrolled: 1-line block ×4, first 2 shown]
	v_add_f32_e32 v66, v67, v66
	v_fmamk_f32 v67, v192, 0x3ee437d1, v252
	v_fmac_f32_e32 v237, 0x3f6eb680, v190
	v_add_f32_e32 v66, v67, v66
	v_fmamk_f32 v67, v194, 0xbf59a7d5, v253
	v_add_f32_e32 v66, v67, v66
	v_fma_f32 v67, 0xbf7ba420, v161, -v254
	v_fmac_f32_e32 v254, 0xbf7ba420, v161
	v_add_f32_e32 v67, v67, v215
	v_mul_f32_e32 v215, 0x3f4c4adb, v93
	v_fmamk_f32 v68, v195, 0xbf1a4643, v215
	v_add_f32_e32 v66, v68, v66
	v_fma_f32 v68, 0xbe8c1d8e, v165, -v255
	v_fmac_f32_e32 v255, 0xbe8c1d8e, v165
	v_add_f32_e32 v67, v68, v67
	v_fma_f32 v68, 0x3f6eb680, v172, -v137
	v_fmac_f32_e32 v137, 0x3f6eb680, v172
	;; [unrolled: 3-line block ×5, first 2 shown]
	v_add_f32_e32 v68, v68, v67
	v_fmamk_f32 v67, v193, 0x3f3d2fb0, v145
	v_add_f32_e32 v67, v67, v66
	v_fma_f32 v66, 0x3f3d2fb0, v190, -v146
	v_fmac_f32_e32 v146, 0x3f3d2fb0, v190
	v_add_f32_e32 v66, v66, v68
	v_fmamk_f32 v68, v179, 0xbf59a7d5, v78
	v_fma_f32 v78, 0xbf59a7d5, v179, -v78
	v_add_f32_e32 v68, v68, v75
	v_add_f32_e32 v68, v69, v68
	v_fmamk_f32 v69, v189, 0x3ee437d1, v147
	v_add_f32_e32 v68, v69, v68
	v_fmamk_f32 v69, v192, 0xbf7ba420, v148
	;; [unrolled: 2-line block ×3, first 2 shown]
	v_add_f32_e32 v68, v69, v68
	v_fma_f32 v69, 0xbf59a7d5, v161, -v150
	v_fmac_f32_e32 v150, 0xbf59a7d5, v161
	v_add_f32_e32 v69, v69, v214
	v_mul_f32_e32 v214, 0xbeb8f4ab, v93
	v_fmamk_f32 v70, v195, 0x3f6eb680, v214
	v_add_f32_e32 v68, v70, v68
	v_fma_f32 v70, 0x3f3d2fb0, v165, -v151
	v_fmac_f32_e32 v151, 0x3f3d2fb0, v165
	v_add_f32_e32 v69, v70, v69
	v_fma_f32 v70, 0x3ee437d1, v172, -v152
	v_fmac_f32_e32 v152, 0x3ee437d1, v172
	;; [unrolled: 3-line block ×5, first 2 shown]
	v_add_f32_e32 v70, v70, v69
	v_fmamk_f32 v69, v193, 0xbf1a4643, v156
	v_add_f32_e32 v69, v69, v68
	v_fma_f32 v68, 0xbf1a4643, v190, -v157
	v_fmac_f32_e32 v157, 0xbf1a4643, v190
	v_add_f32_e32 v68, v68, v70
	v_fmamk_f32 v70, v179, 0xbe8c1d8e, v158
	v_add_f32_e32 v70, v70, v73
	v_add_f32_e32 v70, v71, v70
	v_fmamk_f32 v71, v189, 0xbf59a7d5, v142
	v_add_f32_e32 v70, v71, v70
	v_fmamk_f32 v71, v192, 0x3dbcf732, v162
	;; [unrolled: 2-line block ×3, first 2 shown]
	v_add_f32_e32 v70, v71, v70
	v_fma_f32 v71, 0xbe8c1d8e, v161, -v166
	v_fmac_f32_e32 v166, 0xbe8c1d8e, v161
	v_add_f32_e32 v71, v71, v213
	v_mul_f32_e32 v213, 0xbe3c28d5, v93
	v_fmamk_f32 v73, v195, 0xbf7ba420, v213
	v_add_f32_e32 v70, v73, v70
	v_fma_f32 v73, 0x3f6eb680, v165, -v167
	v_fmac_f32_e32 v167, 0x3f6eb680, v165
	v_add_f32_e32 v71, v73, v71
	v_fma_f32 v73, 0xbf59a7d5, v172, -v169
	v_fmac_f32_e32 v169, 0xbf59a7d5, v172
	;; [unrolled: 3-line block ×5, first 2 shown]
	v_add_f32_e32 v73, v73, v71
	v_fmamk_f32 v71, v193, 0x3ee437d1, v176
	v_add_f32_e32 v71, v71, v70
	v_fma_f32 v70, 0x3ee437d1, v190, -v177
	v_fmac_f32_e32 v177, 0x3ee437d1, v190
	v_add_f32_e32 v70, v70, v73
	v_fmamk_f32 v73, v179, 0x3ee437d1, v76
	v_fma_f32 v76, 0x3ee437d1, v179, -v76
	v_add_f32_e32 v72, v73, v72
	v_fmamk_f32 v73, v186, 0x3dbcf732, v77
	v_fma_f32 v77, 0x3dbcf732, v186, -v77
	;; [unrolled: 3-line block ×3, first 2 shown]
	v_add_f32_e32 v72, v73, v72
	v_fmamk_f32 v73, v192, 0x3f6eb680, v181
	v_add_f32_e32 v72, v73, v72
	v_fmamk_f32 v73, v194, 0xbf7ba420, v184
	v_add_f32_e32 v72, v73, v72
	v_fma_f32 v73, 0x3ee437d1, v161, -v185
	v_fmac_f32_e32 v185, 0x3ee437d1, v161
	v_add_f32_e32 v73, v73, v212
	v_mul_f32_e32 v212, 0x3f2c7751, v93
	v_fmamk_f32 v74, v195, 0x3f3d2fb0, v212
	v_add_f32_e32 v72, v74, v72
	v_fma_f32 v74, 0x3dbcf732, v165, -v159
	v_fmac_f32_e32 v159, 0x3dbcf732, v165
	v_add_f32_e32 v73, v74, v73
	v_fma_f32 v74, 0xbf1a4643, v172, -v160
	v_fmac_f32_e32 v160, 0xbf1a4643, v172
	;; [unrolled: 3-line block ×5, first 2 shown]
	v_add_f32_e32 v74, v74, v73
	v_fmamk_f32 v73, v193, 0xbe8c1d8e, v126
	v_add_f32_e32 v73, v73, v72
	v_fma_f32 v72, 0xbe8c1d8e, v190, -v127
	v_fmac_f32_e32 v127, 0xbe8c1d8e, v190
	v_add_f32_e32 v72, v72, v74
	v_fmamk_f32 v74, v179, 0x3f6eb680, v128
	v_add_f32_e32 v74, v74, v217
	v_mul_f32_e32 v217, 0xbf06c442, v180
	v_fmamk_f32 v75, v186, 0xbf59a7d5, v217
	v_add_f32_e32 v74, v75, v74
	v_fmamk_f32 v75, v189, 0x3f3d2fb0, v129
	v_add_f32_e32 v74, v75, v74
	v_fmamk_f32 v75, v192, 0xbf1a4643, v130
	v_add_f32_e32 v74, v75, v74
	v_fmamk_f32 v75, v194, 0x3ee437d1, v131
	v_add_f32_e32 v74, v75, v74
	v_fma_f32 v75, 0x3f6eb680, v161, -v132
	v_fmac_f32_e32 v132, 0x3f6eb680, v161
	v_add_f32_e32 v75, v75, v211
	v_fmamk_f32 v211, v195, 0xbe8c1d8e, v196
	v_add_f32_e32 v74, v211, v74
	v_fma_f32 v211, 0xbf59a7d5, v165, -v197
	v_fmac_f32_e32 v197, 0xbf59a7d5, v165
	v_add_f32_e32 v75, v211, v75
	v_fma_f32 v211, 0x3f3d2fb0, v172, -v198
	v_fmac_f32_e32 v198, 0x3f3d2fb0, v172
	;; [unrolled: 3-line block ×5, first 2 shown]
	v_add_f32_e32 v211, v211, v75
	v_fmamk_f32 v75, v193, 0x3dbcf732, v163
	v_add_f32_e32 v75, v75, v74
	v_fma_f32 v74, 0x3dbcf732, v190, -v202
	v_fmac_f32_e32 v202, 0x3dbcf732, v190
	v_add_f32_e32 v74, v74, v211
	buffer_load_dword v211, off, s[16:19], 0 offset:172 ; 4-byte Folded Reload
	s_waitcnt vmcnt(0)
	v_add_f32_e32 v76, v76, v211
	v_add_f32_e32 v76, v77, v76
	buffer_load_dword v77, off, s[16:19], 0 offset:168 ; 4-byte Folded Reload
	v_add_f32_e32 v76, v178, v76
	s_waitcnt vmcnt(0)
	v_add_f32_e32 v77, v185, v77
	v_add_f32_e32 v77, v159, v77
	v_fma_f32 v159, 0x3f6eb680, v192, -v181
	v_add_f32_e32 v77, v160, v77
	v_add_f32_e32 v76, v159, v76
	v_fma_f32 v159, 0xbf7ba420, v194, -v184
	v_add_f32_e32 v77, v140, v77
	v_fma_f32 v140, 0x3f3d2fb0, v195, -v212
	v_mov_b32_e32 v212, v87
	v_mov_b32_e32 v211, v86
	buffer_load_dword v86, off, s[16:19], 0 offset:160 ; 4-byte Folded Reload
	v_add_f32_e32 v76, v159, v76
	v_add_f32_e32 v77, v138, v77
	v_fma_f32 v138, 0x3dbcf732, v193, -v163
	v_mov_b32_e32 v159, v227
	v_add_f32_e32 v76, v140, v76
	v_add_f32_e32 v125, v125, v77
	v_fma_f32 v77, 0xbe8c1d8e, v193, -v126
	v_fma_f32 v126, 0xbf59a7d5, v186, -v217
	v_mul_f32_e32 v140, 0x3dbcf732, v172
	v_add_f32_e32 v77, v77, v76
	v_add_f32_e32 v76, v127, v125
	v_fma_f32 v125, 0x3ee437d1, v189, -v147
	v_fma_f32 v127, 0x3f3d2fb0, v189, -v129
	;; [unrolled: 1-line block ×3, first 2 shown]
	v_add_f32_e32 v140, v140, v175
	v_mul_f32_e32 v147, 0xbf06c442, v93
	s_waitcnt vmcnt(0)
	v_add_f32_e32 v78, v78, v86
	buffer_load_dword v86, off, s[16:19], 0 offset:144 ; 4-byte Folded Reload
	v_add_f32_e32 v78, v79, v78
	buffer_load_dword v79, off, s[16:19], 0 offset:156 ; 4-byte Folded Reload
	v_add_f32_e32 v78, v125, v78
	v_fma_f32 v125, 0xbf7ba420, v192, -v148
	v_add_f32_e32 v78, v125, v78
	v_fma_f32 v125, 0x3dbcf732, v194, -v149
	v_mul_f32_e32 v149, 0xbf7ba420, v190
	v_add_f32_e32 v78, v125, v78
	v_fma_f32 v125, 0x3f6eb680, v195, -v214
	v_add_f32_e32 v78, v125, v78
	s_waitcnt vmcnt(1)
	v_add_f32_e32 v80, v80, v86
	buffer_load_dword v86, off, s[16:19], 0 offset:136 ; 4-byte Folded Reload
	v_add_f32_e32 v80, v81, v80
	v_fma_f32 v81, 0xbe8c1d8e, v189, -v238
	v_add_f32_e32 v80, v81, v80
	v_fma_f32 v81, 0x3f3d2fb0, v192, -v239
	;; [unrolled: 2-line block ×3, first 2 shown]
	v_add_f32_e32 v80, v81, v80
	buffer_load_dword v81, off, s[16:19], 0 offset:140 ; 4-byte Folded Reload
	s_waitcnt vmcnt(2)
	v_add_f32_e32 v79, v150, v79
	v_mul_f32_e32 v150, 0xbe3c28d5, v94
	v_add_f32_e32 v79, v151, v79
	v_mov_b32_e32 v151, v220
	v_add_f32_e32 v79, v152, v79
	v_mov_b32_e32 v152, v218
	;; [unrolled: 2-line block ×4, first 2 shown]
	v_add_f32_e32 v125, v155, v79
	v_fma_f32 v79, 0xbf1a4643, v193, -v156
	v_mov_b32_e32 v155, v219
	v_mov_b32_e32 v156, v236
	v_add_f32_e32 v79, v79, v78
	v_add_f32_e32 v78, v157, v125
	v_fma_f32 v125, 0x3dbcf732, v195, -v216
	v_mov_b32_e32 v157, v229
	v_add_f32_e32 v80, v125, v80
	s_waitcnt vmcnt(0)
	v_add_f32_e32 v81, v241, v81
	v_add_f32_e32 v81, v242, v81
	;; [unrolled: 1-line block ×6, first 2 shown]
	v_fma_f32 v81, 0xbf59a7d5, v193, -v247
	v_mov_b32_e32 v247, v85
	buffer_load_dword v85, off, s[16:19], 0 offset:80 ; 4-byte Folded Reload
	v_add_f32_e32 v81, v81, v80
	v_add_f32_e32 v80, v248, v125
	v_fma_f32 v125, 0x3f6eb680, v179, -v128
	v_fma_f32 v128, 0xbf7ba420, v179, -v168
	v_add_f32_e32 v125, v125, v86
	buffer_load_dword v86, off, s[16:19], 0 offset:132 ; 4-byte Folded Reload
	v_add_f32_e32 v125, v126, v125
	v_add_f32_e32 v125, v127, v125
	v_fma_f32 v127, 0xbf1a4643, v192, -v130
	v_fma_f32 v130, 0x3ee437d1, v192, -v252
	v_add_f32_e32 v125, v127, v125
	v_fma_f32 v127, 0x3ee437d1, v194, -v131
	v_fma_f32 v131, 0xbf1a4643, v186, -v83
	v_add_f32_e32 v125, v127, v125
	v_fma_f32 v127, 0xbe8c1d8e, v195, -v196
	v_add_f32_e32 v125, v127, v125
	v_fma_f32 v127, 0xbe8c1d8e, v179, -v158
	v_mov_b32_e32 v158, v228
	s_waitcnt vmcnt(0)
	v_add_f32_e32 v126, v132, v86
	buffer_load_dword v86, off, s[16:19], 0 offset:128 ; 4-byte Folded Reload
	v_mul_f32_e32 v132, 0x3f3d2fb0, v161
	v_add_f32_e32 v126, v197, v126
	v_add_f32_e32 v126, v198, v126
	;; [unrolled: 1-line block ×5, first 2 shown]
	s_waitcnt vmcnt(0)
	v_add_f32_e32 v127, v127, v86
	buffer_load_dword v86, off, s[16:19], 0 offset:124 ; 4-byte Folded Reload
	v_add_f32_e32 v84, v84, v127
	v_fma_f32 v127, 0xbf59a7d5, v189, -v142
	v_fma_f32 v142, 0x3f3d2fb0, v193, -v145
	v_mul_f32_e32 v145, 0xbf59a7d5, v187
	v_add_f32_e32 v84, v127, v84
	v_fma_f32 v127, 0x3dbcf732, v192, -v162
	v_add_f32_e32 v84, v127, v84
	v_fma_f32 v127, 0x3f3d2fb0, v194, -v164
	;; [unrolled: 2-line block ×3, first 2 shown]
	v_mov_b32_e32 v213, v249
	v_mov_b32_e32 v214, v250
	;; [unrolled: 1-line block ×4, first 2 shown]
	v_add_f32_e32 v84, v127, v84
	v_mov_b32_e32 v88, v224
	v_mov_b32_e32 v89, v225
	s_waitcnt vmcnt(0)
	v_add_f32_e32 v127, v166, v86
	buffer_load_dword v86, off, s[16:19], 0 offset:120 ; 4-byte Folded Reload
	v_add_f32_e32 v127, v167, v127
	v_add_f32_e32 v127, v169, v127
	;; [unrolled: 1-line block ×6, first 2 shown]
	s_waitcnt vmcnt(0)
	v_add_f32_e32 v128, v128, v86
	buffer_load_dword v86, off, s[16:19], 0 offset:116 ; 4-byte Folded Reload
	v_add_f32_e32 v128, v129, v128
	v_fma_f32 v129, 0x3f6eb680, v189, -v251
	s_clause 0x1
	buffer_load_dword v251, off, s[16:19], 0 offset:64
	buffer_load_dword v252, off, s[16:19], 0 offset:68
	v_add_f32_e32 v128, v129, v128
	v_add_f32_e32 v128, v130, v128
	v_fma_f32 v130, 0xbf59a7d5, v194, -v253
	v_add_f32_e32 v128, v130, v128
	v_fma_f32 v130, 0xbf1a4643, v195, -v215
	;; [unrolled: 2-line block ×3, first 2 shown]
	v_add_f32_e32 v164, v142, v128
	v_mov_b32_e32 v142, v222
	s_waitcnt vmcnt(2)
	v_add_f32_e32 v129, v254, v86
	s_clause 0x3
	buffer_load_dword v253, off, s[16:19], 0 offset:72
	buffer_load_dword v254, off, s[16:19], 0 offset:76
	;; [unrolled: 1-line block ×4, first 2 shown]
	v_add_f32_e32 v129, v255, v129
	v_add_f32_e32 v129, v137, v129
	v_mul_f32_e32 v137, 0x3ee437d1, v165
	v_add_f32_e32 v129, v139, v129
	v_fma_f32 v139, 0x3ee437d1, v193, -v176
	v_add_f32_e32 v129, v143, v129
	v_add_f32_e32 v162, v139, v84
	buffer_load_dword v139, off, s[16:19], 0 offset:40 ; 4-byte Folded Reload
	v_add_f32_e32 v129, v144, v129
	v_add_f32_e32 v163, v146, v129
	s_waitcnt vmcnt(2)
	v_add_f32_e32 v130, v130, v82
	buffer_load_dword v82, off, s[16:19], 0 offset:108 ; 4-byte Folded Reload
	v_add_f32_e32 v130, v131, v130
	v_fma_f32 v131, 0xbf7ba420, v189, -v207
	v_add_f32_e32 v130, v131, v130
	v_fma_f32 v131, 0xbf59a7d5, v192, -v209
	;; [unrolled: 2-line block ×4, first 2 shown]
	v_add_f32_e32 v130, v131, v130
	v_mul_f32_e32 v131, 0xbf2c7751, v90
	s_waitcnt vmcnt(0)
	v_add_f32_e32 v83, v230, v82
	buffer_load_dword v82, off, s[16:19], 0 offset:88 ; 4-byte Folded Reload
	v_add_f32_e32 v83, v231, v83
	v_add_f32_e32 v83, v232, v83
	;; [unrolled: 1-line block ×4, first 2 shown]
	v_mul_f32_e32 v83, 0xbe8c1d8e, v173
	v_add_f32_e32 v84, v235, v144
	v_add_f32_e32 v148, v83, v188
	;; [unrolled: 1-line block ×3, first 2 shown]
	v_mov_b32_e32 v138, v205
	buffer_load_dword v144, off, s[16:19], 0 offset:44 ; 4-byte Folded Reload
	v_add_f32_e32 v165, v237, v84
	s_waitcnt vmcnt(1)
	v_sub_f32_e32 v131, v82, v131
	buffer_load_dword v82, off, s[16:19], 0 offset:176 ; 4-byte Folded Reload
	s_waitcnt vmcnt(0)
	v_add_f32_e32 v132, v132, v82
	buffer_load_dword v82, off, s[16:19], 0 offset:104 ; 4-byte Folded Reload
	v_add_f32_e32 v132, v132, v86
	buffer_load_dword v86, off, s[16:19], 0 offset:84 ; 4-byte Folded Reload
	s_waitcnt vmcnt(1)
	v_add_f32_e32 v82, v131, v82
	v_mul_f32_e32 v131, 0xbf65296c, v180
	s_waitcnt vmcnt(0)
	v_add_f32_e32 v137, v137, v86
	v_sub_f32_e32 v131, v183, v131
	v_add_f32_e32 v132, v137, v132
	v_mul_f32_e32 v137, 0xbf763a35, v60
	v_mul_f32_e32 v60, 0x3eb8f4ab, v94
	v_add_f32_e32 v82, v131, v82
	v_mul_f32_e32 v131, 0xbf7ee86f, v191
	v_add_f32_e32 v132, v140, v132
	v_mul_f32_e32 v140, 0xbf4c4adb, v91
	v_fma_f32 v143, 0x3f6eb680, v193, -v60
	buffer_load_dword v60, off, s[16:19], 0 offset:164 ; 4-byte Folded Reload
	v_sub_f32_e32 v131, v61, v131
	v_add_f32_e32 v128, v148, v132
	v_sub_f32_e32 v125, v64, v140
	v_add_f32_e32 v166, v143, v130
	buffer_load_dword v143, off, s[16:19], 0 offset:36 ; 4-byte Folded Reload
	v_add_f32_e32 v82, v131, v82
	v_mov_b32_e32 v140, v206
	s_waitcnt vmcnt(1)
	v_sub_f32_e32 v131, v60, v137
	s_clause 0x1
	buffer_load_dword v148, off, s[16:19], 0 offset:60
	buffer_load_dword v60, off, s[16:19], 0 offset:92
	v_mul_f32_e32 v137, 0xbf1a4643, v182
	v_add_f32_e32 v82, v131, v82
	v_add_f32_e32 v64, v137, v65
	buffer_load_dword v137, off, s[16:19], 0 offset:24 ; 4-byte Folded Reload
	v_add_f32_e32 v65, v125, v82
	s_waitcnt vmcnt(1)
	v_add_f32_e32 v57, v57, v60
	buffer_load_dword v60, off, s[16:19], 0 offset:96 ; 4-byte Folded Reload
	v_add_f32_e32 v57, v59, v57
	buffer_load_dword v59, off, s[16:19], 0 offset:180 ; 4-byte Folded Reload
	v_add_f32_e32 v53, v53, v57
	v_add_f32_e32 v55, v55, v53
	;; [unrolled: 1-line block ×3, first 2 shown]
	s_waitcnt vmcnt(1)
	v_add_f32_e32 v56, v56, v60
	buffer_load_dword v60, off, s[16:19], 0 offset:152 ; 4-byte Folded Reload
	v_add_f32_e32 v56, v58, v56
	v_add_f32_e32 v58, v64, v128
	s_waitcnt vmcnt(1)
	v_add_f32_e32 v59, v145, v59
	buffer_load_dword v145, off, s[16:19], 0 offset:32 ; 4-byte Folded Reload
	v_add_f32_e32 v52, v52, v56
	v_sub_f32_e32 v56, v92, v150
	v_add_f32_e32 v57, v59, v58
	v_mul_lo_u16 v59, v140, 17
	s_clause 0x1
	buffer_load_dword v150, off, s[16:19], 0 offset:56
	buffer_load_dword v58, off, s[16:19], 0 offset:148
	v_add_f32_e32 v54, v54, v52
	v_add_f32_e32 v54, v133, v54
	s_waitcnt vmcnt(3)
	v_sub_f32_e32 v82, v60, v147
	buffer_load_dword v147, off, s[16:19], 0 offset:52 ; 4-byte Folded Reload
	v_add_f32_e32 v64, v82, v65
	v_mov_b32_e32 v65, 3
	v_add_f32_e32 v82, v202, v126
	v_add_f32_e32 v53, v56, v64
	v_lshlrev_b32_sdwa v56, v65, v59 dst_sel:DWORD dst_unused:UNUSED_PAD src0_sel:DWORD src1_sel:WORD_0
	s_waitcnt vmcnt(1)
	v_add_f32_e32 v58, v149, v58
	s_clause 0x1
	buffer_load_dword v149, off, s[16:19], 0 offset:48
	buffer_load_dword v146, off, s[16:19], 0 offset:28
	v_add_f32_e32 v52, v58, v57
	ds_write2_b64 v56, v[54:55], v[52:53] offset1:1
	ds_write2_b64 v56, v[165:166], v[80:81] offset0:2 offset1:3
	ds_write2_b64 v56, v[163:164], v[78:79] offset0:4 offset1:5
	;; [unrolled: 1-line block ×7, first 2 shown]
	ds_write_b64 v56, v[135:136] offset:128
.LBB0_17:
	s_or_b32 exec_lo, exec_lo, s1
	v_add_nc_u32_e32 v84, 0x1c00, v141
	v_add_nc_u32_e32 v125, 0x2400, v141
	s_waitcnt vmcnt(0) lgkmcnt(0)
	s_waitcnt_vscnt null, 0x0
	s_barrier
	buffer_gl0_inv
	ds_read2_b64 v[52:55], v84 offset0:56 offset1:175
	ds_read2_b64 v[56:59], v125 offset0:38 offset1:157
	ds_read2_b64 v[60:63], v141 offset1:119
	v_add_nc_u32_e32 v126, 0x2c00, v141
	v_add_nc_u32_e32 v127, 0x400, v141
	;; [unrolled: 1-line block ×5, first 2 shown]
	ds_read2_b64 v[64:67], v126 offset0:20 offset1:139
	ds_read2_b64 v[68:71], v127 offset0:110 offset1:229
	ds_read2_b64 v[72:75], v128 offset0:92 offset1:211
	ds_read2_b64 v[76:79], v129 offset0:74 offset1:193
	ds_read2_b64 v[80:83], v130 offset0:130 offset1:249
	s_clause 0x1
	buffer_load_dword v86, off, s[16:19], 0 offset:16
	buffer_load_dword v87, off, s[16:19], 0 offset:20
	s_waitcnt lgkmcnt(7)
	v_mul_f32_e32 v131, v96, v53
	v_mul_f32_e32 v96, v96, v52
	s_waitcnt lgkmcnt(6)
	v_mul_f32_e32 v133, v98, v57
	v_mul_f32_e32 v98, v98, v56
	;; [unrolled: 1-line block ×3, first 2 shown]
	v_fmac_f32_e32 v131, v95, v52
	v_fma_f32 v53, v95, v53, -v96
	v_fmac_f32_e32 v133, v97, v56
	v_fma_f32 v95, v97, v57, -v98
	s_clause 0x1
	buffer_load_dword v56, off, s[16:19], 0 offset:8
	buffer_load_dword v57, off, s[16:19], 0 offset:12
	v_mul_f32_e32 v100, v100, v54
	v_fmac_f32_e32 v132, v99, v54
	s_waitcnt lgkmcnt(4)
	v_mul_f32_e32 v92, v89, v67
	s_waitcnt lgkmcnt(0)
	v_mul_f32_e32 v91, v249, v81
	v_sub_f32_e32 v53, v61, v53
	v_fma_f32 v55, v99, v55, -v100
	v_fmac_f32_e32 v92, v88, v66
	v_fmac_f32_e32 v91, v248, v80
	s_waitcnt vmcnt(2)
	v_mul_f32_e32 v134, v87, v59
	v_mul_f32_e32 v52, v87, v58
	v_fmac_f32_e32 v134, v86, v58
	v_fma_f32 v93, v86, v59, -v52
	v_mul_f32_e32 v52, v89, v66
	v_sub_f32_e32 v59, v69, v95
	v_fma_f32 v89, v88, v67, -v52
	v_sub_f32_e32 v52, v60, v131
	s_waitcnt vmcnt(0)
	v_mul_f32_e32 v94, v57, v65
	v_mul_f32_e32 v54, v57, v64
	s_clause 0x1
	buffer_load_dword v57, off, s[16:19], 0
	buffer_load_dword v58, off, s[16:19], 0 offset:4
	s_waitcnt vmcnt(0)
	s_barrier
	v_fmac_f32_e32 v94, v56, v64
	v_fma_f32 v90, v56, v65, -v54
	v_mul_f32_e32 v54, v249, v80
	v_sub_f32_e32 v64, v70, v134
	v_sub_f32_e32 v65, v71, v93
	;; [unrolled: 1-line block ×4, first 2 shown]
	v_fma_f32 v81, v248, v81, -v54
	v_fma_f32 v54, v60, 2.0, -v52
	v_sub_f32_e32 v80, v76, v91
	v_fma_f32 v72, v72, 2.0, -v66
	v_fma_f32 v73, v73, 2.0, -v67
	v_sub_f32_e32 v81, v77, v81
	buffer_gl0_inv
	v_fma_f32 v76, v76, 2.0, -v80
	v_fma_f32 v77, v77, 2.0, -v81
	v_mul_f32_e32 v86, v58, v83
	v_mul_f32_e32 v56, v58, v82
	v_sub_f32_e32 v58, v68, v133
	v_fmac_f32_e32 v86, v57, v82
	v_fma_f32 v83, v57, v83, -v56
	v_sub_f32_e32 v56, v62, v132
	v_sub_f32_e32 v57, v63, v55
	v_fma_f32 v55, v61, 2.0, -v53
	v_sub_f32_e32 v82, v78, v86
	v_sub_f32_e32 v83, v79, v83
	v_fma_f32 v60, v62, 2.0, -v56
	v_fma_f32 v61, v63, 2.0, -v57
	;; [unrolled: 1-line block ×5, first 2 shown]
	v_sub_f32_e32 v70, v74, v92
	v_fma_f32 v69, v71, 2.0, -v65
	v_sub_f32_e32 v71, v75, v89
	v_fma_f32 v78, v78, 2.0, -v82
	v_fma_f32 v79, v79, 2.0, -v83
	;; [unrolled: 1-line block ×4, first 2 shown]
	ds_write2_b64 v148, v[54:55], v[52:53] offset1:17
	ds_write2_b64 v149, v[60:61], v[56:57] offset1:17
	;; [unrolled: 1-line block ×8, first 2 shown]
	s_waitcnt lgkmcnt(0)
	s_barrier
	buffer_gl0_inv
	ds_read2_b64 v[52:55], v84 offset0:56 offset1:175
	ds_read2_b64 v[56:59], v125 offset0:38 offset1:157
	ds_read2_b64 v[60:63], v141 offset1:119
	ds_read2_b64 v[64:67], v126 offset0:20 offset1:139
	ds_read2_b64 v[68:71], v127 offset0:110 offset1:229
	;; [unrolled: 1-line block ×5, first 2 shown]
	s_waitcnt lgkmcnt(0)
	s_barrier
	buffer_gl0_inv
	v_mul_f32_e32 v84, v116, v53
	v_mul_f32_e32 v85, v116, v52
	;; [unrolled: 1-line block ×5, first 2 shown]
	v_fmac_f32_e32 v84, v115, v52
	v_mul_f32_e32 v52, v112, v54
	v_fma_f32 v53, v115, v53, -v85
	v_mul_f32_e32 v85, v114, v57
	v_fmac_f32_e32 v86, v111, v54
	v_mul_f32_e32 v54, v108, v64
	v_fma_f32 v55, v111, v55, -v52
	v_mul_f32_e32 v52, v110, v58
	v_mul_f32_e32 v89, v108, v65
	v_fmac_f32_e32 v85, v113, v56
	v_fma_f32 v87, v113, v57, -v87
	v_fmac_f32_e32 v88, v109, v58
	v_mul_f32_e32 v90, v106, v67
	v_fma_f32 v91, v109, v59, -v52
	v_mul_f32_e32 v52, v106, v66
	v_fma_f32 v92, v107, v65, -v54
	v_mul_f32_e32 v93, v104, v81
	v_mul_f32_e32 v54, v104, v80
	;; [unrolled: 1-line block ×4, first 2 shown]
	v_fmac_f32_e32 v89, v107, v64
	v_fmac_f32_e32 v90, v105, v66
	v_fma_f32 v94, v105, v67, -v52
	v_fmac_f32_e32 v93, v103, v80
	v_sub_f32_e32 v52, v60, v84
	v_fma_f32 v80, v103, v81, -v54
	v_fmac_f32_e32 v95, v101, v82
	v_fma_f32 v81, v101, v83, -v56
	v_sub_f32_e32 v53, v61, v53
	v_sub_f32_e32 v56, v62, v86
	;; [unrolled: 1-line block ×9, first 2 shown]
	v_fma_f32 v54, v60, 2.0, -v52
	v_fma_f32 v55, v61, 2.0, -v53
	v_fma_f32 v60, v62, 2.0, -v56
	v_fma_f32 v61, v63, 2.0, -v57
	v_fma_f32 v62, v68, 2.0, -v58
	v_fma_f32 v63, v69, 2.0, -v59
	v_fma_f32 v68, v70, 2.0, -v64
	v_sub_f32_e32 v70, v74, v90
	v_fma_f32 v69, v71, 2.0, -v65
	v_sub_f32_e32 v71, v75, v94
	v_sub_f32_e32 v85, v76, v93
	;; [unrolled: 1-line block ×5, first 2 shown]
	v_fma_f32 v72, v72, 2.0, -v66
	v_fma_f32 v73, v73, 2.0, -v67
	;; [unrolled: 1-line block ×8, first 2 shown]
	ds_write2_b64 v156, v[54:55], v[52:53] offset1:34
	ds_write2_b64 v157, v[60:61], v[56:57] offset1:34
	;; [unrolled: 1-line block ×8, first 2 shown]
	v_add_nc_u32_e32 v56, 0x800, v141
	v_add_nc_u32_e32 v57, 0x1000, v141
	v_add_nc_u32_e32 v58, 0x1800, v141
	v_add_nc_u32_e32 v59, 0x2000, v141
	v_add_nc_u32_e32 v64, 0x2800, v141
	s_waitcnt lgkmcnt(0)
	s_barrier
	buffer_gl0_inv
	ds_read2_b64 v[52:55], v141 offset1:119
	ds_read2_b64 v[76:79], v56 offset0:16 offset1:135
	ds_read2_b64 v[72:75], v57 offset0:32 offset1:151
	;; [unrolled: 1-line block ×6, first 2 shown]
	s_and_saveexec_b32 s1, s0
	s_cbranch_execz .LBB0_19
; %bb.18:
	ds_read_b64 v[80:81], v141 offset:1904
	ds_read_b64 v[82:83], v141 offset:4080
	;; [unrolled: 1-line block ×7, first 2 shown]
.LBB0_19:
	s_or_b32 exec_lo, exec_lo, s1
	s_waitcnt lgkmcnt(5)
	v_mul_f32_e32 v84, v33, v77
	v_mul_f32_e32 v33, v33, v76
	s_waitcnt lgkmcnt(4)
	v_mul_f32_e32 v85, v35, v73
	v_mul_f32_e32 v35, v35, v72
	s_waitcnt lgkmcnt(0)
	v_fmac_f32_e32 v84, v32, v76
	v_fma_f32 v32, v32, v77, -v33
	v_fmac_f32_e32 v85, v34, v72
	v_fma_f32 v33, v34, v73, -v35
	v_mul_f32_e32 v34, v29, v69
	v_mul_f32_e32 v29, v29, v68
	v_mul_f32_e32 v35, v31, v61
	v_mul_f32_e32 v31, v31, v60
	v_mul_f32_e32 v72, v21, v57
	v_fmac_f32_e32 v34, v28, v68
	v_fma_f32 v28, v28, v69, -v29
	v_fmac_f32_e32 v35, v30, v60
	v_fma_f32 v29, v30, v61, -v31
	v_mul_f32_e32 v21, v21, v56
	v_mul_f32_e32 v30, v23, v65
	v_mul_f32_e32 v23, v23, v64
	v_fmac_f32_e32 v72, v20, v56
	v_mul_f32_e32 v60, v19, v63
	v_fma_f32 v20, v20, v57, -v21
	v_fmac_f32_e32 v30, v22, v64
	v_fma_f32 v21, v22, v65, -v23
	v_mul_f32_e32 v57, v27, v75
	v_mul_f32_e32 v22, v27, v74
	;; [unrolled: 1-line block ×4, first 2 shown]
	v_fmac_f32_e32 v60, v18, v62
	v_mul_f32_e32 v31, v25, v79
	v_mul_f32_e32 v25, v25, v78
	v_fmac_f32_e32 v27, v16, v70
	v_fma_f32 v61, v16, v71, -v17
	v_mul_f32_e32 v16, v19, v62
	v_mul_f32_e32 v62, v13, v59
	;; [unrolled: 1-line block ×5, first 2 shown]
	v_fma_f32 v63, v18, v63, -v16
	v_fmac_f32_e32 v62, v12, v58
	v_fma_f32 v58, v12, v59, -v13
	v_add_f32_e32 v12, v84, v30
	v_add_f32_e32 v13, v32, v21
	;; [unrolled: 1-line block ×4, first 2 shown]
	v_fmac_f32_e32 v31, v24, v78
	v_fma_f32 v56, v24, v79, -v25
	v_fmac_f32_e32 v57, v26, v74
	v_fma_f32 v26, v26, v75, -v22
	;; [unrolled: 2-line block ×3, first 2 shown]
	v_sub_f32_e32 v14, v84, v30
	v_sub_f32_e32 v15, v32, v21
	;; [unrolled: 1-line block ×4, first 2 shown]
	v_add_f32_e32 v20, v34, v35
	v_add_f32_e32 v21, v28, v29
	v_sub_f32_e32 v22, v35, v34
	v_sub_f32_e32 v23, v29, v28
	v_add_f32_e32 v24, v16, v12
	v_add_f32_e32 v25, v17, v13
	v_sub_f32_e32 v28, v16, v12
	v_sub_f32_e32 v29, v17, v13
	;; [unrolled: 1-line block ×6, first 2 shown]
	v_add_f32_e32 v12, v22, v18
	v_add_f32_e32 v13, v23, v19
	v_sub_f32_e32 v33, v22, v18
	v_sub_f32_e32 v34, v23, v19
	;; [unrolled: 1-line block ×3, first 2 shown]
	v_add_f32_e32 v20, v20, v24
	v_add_f32_e32 v21, v21, v25
	v_sub_f32_e32 v19, v19, v15
	v_sub_f32_e32 v22, v14, v22
	;; [unrolled: 1-line block ×3, first 2 shown]
	v_add_f32_e32 v14, v12, v14
	v_add_f32_e32 v15, v13, v15
	;; [unrolled: 1-line block ×4, first 2 shown]
	v_mul_f32_e32 v24, 0x3f4a47b2, v30
	v_mul_f32_e32 v25, 0x3f4a47b2, v32
	;; [unrolled: 1-line block ×8, first 2 shown]
	v_fmamk_f32 v20, v20, 0xbf955555, v12
	v_fmamk_f32 v21, v21, 0xbf955555, v13
	;; [unrolled: 1-line block ×4, first 2 shown]
	v_fma_f32 v30, 0x3f3bfb3b, v28, -v30
	v_fma_f32 v32, 0x3f3bfb3b, v29, -v32
	;; [unrolled: 1-line block ×4, first 2 shown]
	v_fmamk_f32 v28, v22, 0xbeae86e6, v33
	v_fmamk_f32 v29, v23, 0xbeae86e6, v34
	v_fma_f32 v33, 0xbf5ff5aa, v18, -v33
	v_fma_f32 v34, 0xbf5ff5aa, v19, -v34
	;; [unrolled: 1-line block ×4, first 2 shown]
	v_add_f32_e32 v52, v16, v20
	v_add_f32_e32 v53, v17, v21
	;; [unrolled: 1-line block ×6, first 2 shown]
	v_fmac_f32_e32 v28, 0xbee1c552, v14
	v_fmac_f32_e32 v29, 0xbee1c552, v15
	;; [unrolled: 1-line block ×6, first 2 shown]
	v_add_f32_e32 v14, v29, v52
	v_sub_f32_e32 v15, v53, v28
	v_add_f32_e32 v16, v22, v24
	v_sub_f32_e32 v17, v25, v35
	v_sub_f32_e32 v18, v23, v34
	v_add_f32_e32 v19, v33, v30
	v_add_f32_e32 v20, v34, v23
	v_sub_f32_e32 v21, v30, v33
	v_sub_f32_e32 v22, v24, v22
	v_add_f32_e32 v23, v35, v25
	v_sub_f32_e32 v24, v52, v29
	v_add_f32_e32 v25, v28, v53
	v_add_f32_e32 v28, v31, v64
	v_add_f32_e32 v29, v56, v59
	v_add_f32_e32 v32, v57, v62
	v_add_f32_e32 v33, v26, v58
	v_sub_f32_e32 v30, v31, v64
	v_sub_f32_e32 v31, v56, v59
	v_sub_f32_e32 v34, v57, v62
	v_sub_f32_e32 v26, v26, v58
	v_add_f32_e32 v35, v27, v60
	v_add_f32_e32 v52, v61, v63
	v_sub_f32_e32 v27, v60, v27
	v_sub_f32_e32 v53, v63, v61
	v_add_f32_e32 v56, v32, v28
	v_add_f32_e32 v57, v33, v29
	v_sub_f32_e32 v58, v32, v28
	v_sub_f32_e32 v59, v33, v29
	;; [unrolled: 1-line block ×6, first 2 shown]
	v_add_f32_e32 v60, v27, v34
	v_add_f32_e32 v61, v53, v26
	v_sub_f32_e32 v62, v27, v34
	v_sub_f32_e32 v63, v53, v26
	;; [unrolled: 1-line block ×3, first 2 shown]
	v_add_f32_e32 v35, v35, v56
	v_add_f32_e32 v52, v52, v57
	v_sub_f32_e32 v56, v26, v31
	v_sub_f32_e32 v64, v30, v27
	v_sub_f32_e32 v53, v31, v53
	v_add_f32_e32 v30, v60, v30
	v_add_f32_e32 v31, v61, v31
	;; [unrolled: 1-line block ×4, first 2 shown]
	v_mul_f32_e32 v28, 0x3f4a47b2, v28
	v_mul_f32_e32 v29, 0x3f4a47b2, v29
	;; [unrolled: 1-line block ×8, first 2 shown]
	v_fmamk_f32 v35, v35, 0xbf955555, v26
	v_fmamk_f32 v52, v52, 0xbf955555, v27
	;; [unrolled: 1-line block ×4, first 2 shown]
	v_fma_f32 v54, 0x3f3bfb3b, v58, -v54
	v_fma_f32 v55, 0x3f3bfb3b, v59, -v55
	;; [unrolled: 1-line block ×4, first 2 shown]
	v_fmamk_f32 v58, v64, 0xbeae86e6, v57
	v_fmamk_f32 v59, v53, 0xbeae86e6, v60
	v_fma_f32 v57, 0xbf5ff5aa, v34, -v57
	v_fma_f32 v34, 0xbf5ff5aa, v56, -v60
	;; [unrolled: 1-line block ×4, first 2 shown]
	v_add_f32_e32 v62, v28, v35
	v_add_f32_e32 v63, v29, v52
	;; [unrolled: 1-line block ×3, first 2 shown]
	v_fmac_f32_e32 v56, 0xbee1c552, v30
	v_fmac_f32_e32 v53, 0xbee1c552, v31
	v_add_f32_e32 v61, v33, v52
	v_fmac_f32_e32 v58, 0xbee1c552, v30
	v_fmac_f32_e32 v59, 0xbee1c552, v31
	v_add_f32_e32 v54, v54, v35
	v_add_f32_e32 v55, v55, v52
	v_fmac_f32_e32 v57, 0xbee1c552, v30
	v_fmac_f32_e32 v34, 0xbee1c552, v31
	v_add_f32_e32 v30, v53, v62
	v_sub_f32_e32 v31, v63, v56
	v_sub_f32_e32 v52, v62, v53
	v_add_f32_e32 v53, v56, v63
	v_add_nc_u32_e32 v56, 0x800, v159
	v_add_f32_e32 v28, v59, v60
	v_sub_f32_e32 v29, v61, v58
	v_sub_f32_e32 v32, v54, v34
	v_add_f32_e32 v33, v57, v55
	v_add_f32_e32 v34, v34, v54
	v_sub_f32_e32 v35, v55, v57
	s_barrier
	buffer_gl0_inv
	ds_write2_b64 v159, v[12:13], v[14:15] offset1:68
	ds_write2_b64 v159, v[16:17], v[18:19] offset0:136 offset1:204
	v_add_nc_u32_e32 v12, 0x800, v158
	v_sub_f32_e32 v54, v60, v59
	v_add_f32_e32 v55, v58, v61
	ds_write2_b64 v56, v[20:21], v[22:23] offset0:16 offset1:84
	ds_write_b64 v159, v[24:25] offset:3264
	ds_write2_b64 v158, v[26:27], v[28:29] offset1:68
	ds_write2_b64 v158, v[30:31], v[32:33] offset0:136 offset1:204
	ds_write2_b64 v12, v[34:35], v[52:53] offset0:16 offset1:84
	ds_write_b64 v158, v[54:55] offset:3264
	s_and_saveexec_b32 s1, s0
	s_cbranch_execz .LBB0_21
; %bb.20:
	v_mul_f32_e32 v12, v3, v254
	v_mul_f32_e32 v13, v1, v252
	;; [unrolled: 1-line block ×6, first 2 shown]
	v_fmac_f32_e32 v12, v2, v253
	v_fmac_f32_e32 v13, v0, v251
	v_mul_f32_e32 v11, v11, v213
	v_fmac_f32_e32 v14, v4, v82
	v_fmac_f32_e32 v15, v10, v213
	;; [unrolled: 1-line block ×3, first 2 shown]
	v_mul_f32_e32 v5, v5, v82
	v_mul_f32_e32 v9, v9, v211
	;; [unrolled: 1-line block ×5, first 2 shown]
	v_fmac_f32_e32 v18, v8, v211
	v_sub_f32_e32 v17, v12, v13
	v_fma_f32 v10, v10, v214, -v11
	v_fma_f32 v4, v4, v83, -v5
	;; [unrolled: 1-line block ×6, first 2 shown]
	v_sub_f32_e32 v11, v14, v15
	v_add_f32_e32 v14, v15, v14
	v_add_f32_e32 v12, v13, v12
	;; [unrolled: 1-line block ×5, first 2 shown]
	v_sub_f32_e32 v9, v16, v18
	v_add_f32_e32 v1, v0, v2
	v_add_f32_e32 v18, v13, v14
	v_sub_f32_e32 v21, v11, v17
	v_add_f32_e32 v3, v8, v7
	v_sub_f32_e32 v19, v17, v9
	v_sub_f32_e32 v20, v7, v1
	v_add_f32_e32 v17, v17, v9
	v_sub_f32_e32 v16, v14, v12
	v_sub_f32_e32 v2, v2, v0
	;; [unrolled: 1-line block ×4, first 2 shown]
	v_add_f32_e32 v12, v12, v18
	v_sub_f32_e32 v4, v4, v10
	v_add_f32_e32 v3, v1, v3
	v_mul_f32_e32 v20, 0x3f4a47b2, v20
	v_sub_f32_e32 v22, v1, v8
	v_add_f32_e32 v17, v17, v11
	v_mul_f32_e32 v16, 0x3f4a47b2, v16
	v_sub_f32_e32 v10, v2, v5
	v_sub_f32_e32 v9, v9, v11
	v_add_f32_e32 v0, v80, v12
	v_sub_f32_e32 v11, v4, v2
	v_add_f32_e32 v2, v2, v5
	v_sub_f32_e32 v13, v13, v14
	v_sub_f32_e32 v14, v5, v4
	v_mul_f32_e32 v19, 0x3f08b237, v19
	v_add_f32_e32 v1, v81, v3
	v_fmamk_f32 v24, v22, 0x3d64c772, v20
	v_mul_f32_e32 v15, 0x3d64c772, v22
	v_mul_f32_e32 v18, 0x3d64c772, v6
	;; [unrolled: 1-line block ×3, first 2 shown]
	v_fmamk_f32 v6, v6, 0x3d64c772, v16
	v_mul_f32_e32 v22, 0xbf5ff5aa, v9
	v_sub_f32_e32 v7, v8, v7
	v_fmamk_f32 v8, v12, 0xbf955555, v0
	v_add_f32_e32 v2, v2, v4
	v_fma_f32 v4, 0xbf3bfb3b, v13, -v16
	v_mul_f32_e32 v16, 0xbf5ff5aa, v14
	v_fmamk_f32 v23, v21, 0xbeae86e6, v19
	v_fmamk_f32 v25, v3, 0xbf955555, v1
	;; [unrolled: 1-line block ×3, first 2 shown]
	v_fma_f32 v12, 0x3eae86e6, v21, -v22
	v_fma_f32 v20, 0xbf3bfb3b, v7, -v20
	v_add_f32_e32 v21, v6, v8
	v_add_f32_e32 v6, v4, v8
	v_fma_f32 v16, 0x3eae86e6, v11, -v16
	v_fma_f32 v4, 0x3f3bfb3b, v7, -v15
	;; [unrolled: 1-line block ×3, first 2 shown]
	v_mov_b32_e32 v11, 3
	v_fma_f32 v14, 0xbf5ff5aa, v14, -v10
	v_fma_f32 v7, 0x3f3bfb3b, v13, -v18
	v_fmac_f32_e32 v23, 0xbee1c552, v17
	v_add_f32_e32 v24, v24, v25
	v_fmac_f32_e32 v12, 0xbee1c552, v17
	v_add_f32_e32 v20, v20, v25
	v_fmac_f32_e32 v26, 0xbee1c552, v2
	v_fmac_f32_e32 v16, 0xbee1c552, v2
	v_add_f32_e32 v10, v4, v25
	v_fmac_f32_e32 v9, 0xbee1c552, v17
	v_lshlrev_b32_sdwa v15, v11, v142 dst_sel:DWORD dst_unused:UNUSED_PAD src0_sel:DWORD src1_sel:WORD_0
	v_fmac_f32_e32 v14, 0xbee1c552, v2
	v_add_f32_e32 v2, v7, v8
	v_add_f32_e32 v5, v12, v20
	v_sub_f32_e32 v4, v6, v16
	v_sub_f32_e32 v7, v10, v9
	v_add_f32_e32 v9, v9, v10
	v_sub_f32_e32 v11, v20, v12
	v_add_f32_e32 v10, v16, v6
	;; [unrolled: 2-line block ×3, first 2 shown]
	v_add_nc_u32_e32 v16, 0x2800, v15
	v_sub_f32_e32 v8, v2, v14
	v_add_nc_u32_e32 v17, 0x3000, v15
	v_add_f32_e32 v6, v14, v2
	v_add_f32_e32 v3, v23, v24
	v_sub_f32_e32 v2, v21, v26
	ds_write2_b64 v16, v[0:1], v[12:13] offset0:148 offset1:216
	ds_write2_b64 v17, v[10:11], v[8:9] offset0:28 offset1:96
	;; [unrolled: 1-line block ×3, first 2 shown]
	ds_write_b64 v15, v[2:3] offset:14688
.LBB0_21:
	s_or_b32 exec_lo, exec_lo, s1
	v_add_nc_u32_e32 v32, 0xc00, v141
	v_add_nc_u32_e32 v33, 0x1c00, v141
	;; [unrolled: 1-line block ×3, first 2 shown]
	s_waitcnt lgkmcnt(0)
	s_barrier
	buffer_gl0_inv
	ds_read2_b64 v[0:3], v32 offset0:92 offset1:211
	ds_read2_b64 v[4:7], v33 offset0:56 offset1:175
	;; [unrolled: 1-line block ×3, first 2 shown]
	v_add_nc_u32_e32 v35, 0x400, v141
	v_add_nc_u32_e32 v52, 0x1400, v141
	;; [unrolled: 1-line block ×4, first 2 shown]
	ds_read2_b64 v[12:15], v141 offset1:119
	ds_read2_b64 v[16:19], v35 offset0:110 offset1:229
	ds_read2_b64 v[20:23], v52 offset0:74 offset1:193
	;; [unrolled: 1-line block ×4, first 2 shown]
	s_waitcnt lgkmcnt(7)
	v_mul_f32_e32 v55, v37, v1
	s_waitcnt lgkmcnt(6)
	v_mul_f32_e32 v56, v39, v5
	v_mul_f32_e32 v37, v37, v0
	;; [unrolled: 1-line block ×3, first 2 shown]
	s_waitcnt lgkmcnt(5)
	v_mul_f32_e32 v57, v118, v9
	v_mul_f32_e32 v58, v118, v8
	;; [unrolled: 1-line block ×4, first 2 shown]
	v_fmac_f32_e32 v56, v38, v4
	v_mul_f32_e32 v4, v51, v7
	v_fmac_f32_e32 v55, v36, v0
	v_fma_f32 v0, v36, v1, -v37
	v_fma_f32 v1, v38, v5, -v39
	v_fmac_f32_e32 v57, v117, v8
	v_mul_f32_e32 v5, v51, v6
	v_fma_f32 v8, v117, v9, -v58
	v_fmac_f32_e32 v59, v48, v2
	v_fma_f32 v9, v48, v3, -v49
	v_fmac_f32_e32 v4, v50, v6
	v_mul_f32_e32 v6, v124, v11
	v_mul_f32_e32 v2, v124, v10
	s_waitcnt lgkmcnt(2)
	v_mul_f32_e32 v3, v45, v20
	v_fma_f32 v5, v50, v7, -v5
	v_mul_f32_e32 v36, v45, v21
	v_fmac_f32_e32 v6, v123, v10
	v_fma_f32 v7, v123, v11, -v2
	v_fma_f32 v11, v44, v21, -v3
	s_waitcnt lgkmcnt(0)
	v_mul_f32_e32 v10, v122, v29
	v_mul_f32_e32 v21, v41, v23
	;; [unrolled: 1-line block ×3, first 2 shown]
	v_fmac_f32_e32 v36, v44, v20
	v_mul_f32_e32 v2, v47, v24
	v_mul_f32_e32 v3, v122, v28
	;; [unrolled: 1-line block ×3, first 2 shown]
	v_fmac_f32_e32 v10, v121, v28
	v_fmac_f32_e32 v21, v40, v22
	v_mul_f32_e32 v22, v43, v27
	v_sub_f32_e32 v28, v13, v1
	v_fmac_f32_e32 v37, v46, v24
	v_fma_f32 v24, v46, v25, -v2
	v_fma_f32 v25, v121, v29, -v3
	;; [unrolled: 1-line block ×3, first 2 shown]
	v_sub_f32_e32 v20, v12, v56
	v_sub_f32_e32 v29, v55, v57
	v_sub_f32_e32 v8, v0, v8
	v_fmac_f32_e32 v22, v42, v26
	v_fma_f32 v3, v13, 2.0, -v28
	v_mul_f32_e32 v13, v43, v26
	v_mul_f32_e32 v26, v120, v31
	;; [unrolled: 1-line block ×3, first 2 shown]
	v_fma_f32 v2, v12, 2.0, -v20
	v_fma_f32 v1, v55, 2.0, -v29
	;; [unrolled: 1-line block ×3, first 2 shown]
	v_fma_f32 v27, v42, v27, -v13
	v_fmac_f32_e32 v26, v119, v30
	v_fma_f32 v30, v119, v31, -v38
	v_sub_f32_e32 v31, v14, v4
	v_sub_f32_e32 v13, v59, v6
	;; [unrolled: 1-line block ×6, first 2 shown]
	v_fma_f32 v14, v14, 2.0, -v31
	v_fma_f32 v7, v59, 2.0, -v13
	v_sub_f32_e32 v5, v28, v29
	v_add_f32_e32 v4, v20, v8
	v_fma_f32 v15, v15, 2.0, -v38
	v_fma_f32 v9, v9, 2.0, -v12
	v_sub_f32_e32 v8, v14, v7
	v_fma_f32 v7, v28, 2.0, -v5
	v_sub_f32_e32 v28, v16, v37
	v_sub_f32_e32 v29, v36, v10
	;; [unrolled: 1-line block ×5, first 2 shown]
	v_fma_f32 v10, v14, 2.0, -v8
	v_fma_f32 v14, v36, 2.0, -v29
	v_add_f32_e32 v12, v31, v12
	v_fma_f32 v25, v17, 2.0, -v37
	v_fma_f32 v36, v11, 2.0, -v24
	;; [unrolled: 1-line block ×4, first 2 shown]
	v_sub_f32_e32 v13, v38, v13
	v_fma_f32 v11, v15, 2.0, -v9
	v_fma_f32 v16, v31, 2.0, -v12
	v_sub_f32_e32 v15, v25, v36
	v_sub_f32_e32 v31, v18, v22
	;; [unrolled: 1-line block ×5, first 2 shown]
	v_fma_f32 v17, v38, 2.0, -v13
	v_fma_f32 v30, v18, 2.0, -v31
	;; [unrolled: 1-line block ×5, first 2 shown]
	v_sub_f32_e32 v14, v20, v14
	v_add_f32_e32 v22, v28, v24
	v_fma_f32 v21, v25, 2.0, -v15
	v_sub_f32_e32 v24, v30, v19
	v_sub_f32_e32 v25, v38, v39
	v_fma_f32 v2, v2, 2.0, -v0
	v_fma_f32 v3, v3, 2.0, -v1
	v_sub_f32_e32 v23, v37, v29
	v_add_f32_e32 v26, v31, v26
	v_sub_f32_e32 v27, v36, v27
	v_fma_f32 v20, v20, 2.0, -v14
	v_fma_f32 v18, v28, 2.0, -v22
	;; [unrolled: 1-line block ×7, first 2 shown]
	ds_write2_b64 v141, v[2:3], v[10:11] offset1:119
	ds_write2_b64 v32, v[6:7], v[16:17] offset0:92 offset1:211
	ds_write2_b64 v33, v[0:1], v[8:9] offset0:56 offset1:175
	;; [unrolled: 1-line block ×7, first 2 shown]
	s_waitcnt lgkmcnt(0)
	s_barrier
	buffer_gl0_inv
	s_and_b32 exec_lo, exec_lo, vcc_lo
	s_cbranch_execz .LBB0_23
; %bb.22:
	global_load_dwordx2 v[0:1], v138, s[12:13]
	ds_read_b64 v[2:3], v141
	s_mov_b32 s0, 0x1135c811
	s_mov_b32 s1, 0x3f4135c8
	v_mad_u64_u32 v[6:7], null, s4, v140, 0
	s_mul_i32 s2, s5, 0x380
	s_mul_i32 s3, s4, 0x380
	s_waitcnt vmcnt(0) lgkmcnt(0)
	v_mul_f32_e32 v4, v3, v1
	v_mul_f32_e32 v1, v2, v1
	v_fmac_f32_e32 v4, v2, v0
	v_fma_f32 v2, v0, v3, -v1
	v_cvt_f64_f32_e32 v[0:1], v4
	v_cvt_f64_f32_e32 v[2:3], v2
	v_mad_u64_u32 v[4:5], null, s6, v247, 0
	s_mul_hi_u32 s6, s4, 0x380
	s_add_i32 s2, s6, s2
	v_add_co_u32 v13, s6, s12, v138
	v_add_co_ci_u32_e64 v14, null, s13, 0, s6
	v_mad_u64_u32 v[8:9], null, s7, v247, v[5:6]
	v_mad_u64_u32 v[9:10], null, s5, v140, v[7:8]
	v_mov_b32_e32 v5, v8
	v_mul_f64 v[0:1], v[0:1], s[0:1]
	v_mul_f64 v[2:3], v[2:3], s[0:1]
	v_mov_b32_e32 v7, v9
	v_cvt_f32_f64_e32 v0, v[0:1]
	v_cvt_f32_f64_e32 v1, v[2:3]
	v_lshlrev_b64 v[2:3], 3, v[4:5]
	v_lshlrev_b64 v[4:5], 3, v[6:7]
	v_add_co_u32 v11, vcc_lo, s14, v2
	v_add_co_ci_u32_e32 v12, vcc_lo, s15, v3, vcc_lo
	v_add_co_u32 v4, vcc_lo, v11, v4
	v_add_co_ci_u32_e32 v5, vcc_lo, v12, v5, vcc_lo
	global_store_dwordx2 v[4:5], v[0:1], off
	global_load_dwordx2 v[6:7], v138, s[12:13] offset:896
	ds_read2_b64 v[0:3], v138 offset0:112 offset1:224
	v_add_co_u32 v4, vcc_lo, v4, s3
	v_add_co_ci_u32_e32 v5, vcc_lo, s2, v5, vcc_lo
	s_waitcnt vmcnt(0) lgkmcnt(0)
	v_mul_f32_e32 v8, v1, v7
	v_mul_f32_e32 v7, v0, v7
	v_fmac_f32_e32 v8, v0, v6
	v_fma_f32 v6, v6, v1, -v7
	v_cvt_f64_f32_e32 v[0:1], v8
	v_cvt_f64_f32_e32 v[6:7], v6
	v_mul_f64 v[0:1], v[0:1], s[0:1]
	v_mul_f64 v[6:7], v[6:7], s[0:1]
	v_cvt_f32_f64_e32 v0, v[0:1]
	v_cvt_f32_f64_e32 v1, v[6:7]
	global_store_dwordx2 v[4:5], v[0:1], off
	global_load_dwordx2 v[0:1], v138, s[12:13] offset:1792
	v_add_co_u32 v4, vcc_lo, v4, s3
	v_add_co_ci_u32_e32 v5, vcc_lo, s2, v5, vcc_lo
	s_waitcnt vmcnt(0)
	v_mul_f32_e32 v6, v3, v1
	v_mul_f32_e32 v1, v2, v1
	v_fmac_f32_e32 v6, v2, v0
	v_fma_f32 v2, v0, v3, -v1
	v_cvt_f64_f32_e32 v[0:1], v6
	v_cvt_f64_f32_e32 v[2:3], v2
	v_add_co_u32 v6, vcc_lo, 0x800, v13
	v_add_co_ci_u32_e32 v7, vcc_lo, 0, v14, vcc_lo
	v_mul_f64 v[0:1], v[0:1], s[0:1]
	v_mul_f64 v[2:3], v[2:3], s[0:1]
	v_cvt_f32_f64_e32 v0, v[0:1]
	v_cvt_f32_f64_e32 v1, v[2:3]
	global_store_dwordx2 v[4:5], v[0:1], off
	global_load_dwordx2 v[8:9], v[6:7], off offset:640
	v_add_nc_u32_e32 v0, 0x800, v138
	v_add_co_u32 v4, vcc_lo, v4, s3
	v_add_co_ci_u32_e32 v5, vcc_lo, s2, v5, vcc_lo
	ds_read2_b64 v[0:3], v0 offset0:80 offset1:192
	s_waitcnt vmcnt(0) lgkmcnt(0)
	v_mul_f32_e32 v10, v1, v9
	v_mul_f32_e32 v9, v0, v9
	v_fmac_f32_e32 v10, v0, v8
	v_fma_f32 v8, v8, v1, -v9
	v_cvt_f64_f32_e32 v[0:1], v10
	v_cvt_f64_f32_e32 v[8:9], v8
	v_mul_f64 v[0:1], v[0:1], s[0:1]
	v_mul_f64 v[8:9], v[8:9], s[0:1]
	v_cvt_f32_f64_e32 v0, v[0:1]
	v_cvt_f32_f64_e32 v1, v[8:9]
	global_store_dwordx2 v[4:5], v[0:1], off
	global_load_dwordx2 v[0:1], v[6:7], off offset:1536
	v_add_co_u32 v4, vcc_lo, v4, s3
	v_add_co_ci_u32_e32 v5, vcc_lo, s2, v5, vcc_lo
	s_waitcnt vmcnt(0)
	v_mul_f32_e32 v6, v3, v1
	v_mul_f32_e32 v1, v2, v1
	v_fmac_f32_e32 v6, v2, v0
	v_fma_f32 v2, v0, v3, -v1
	v_cvt_f64_f32_e32 v[0:1], v6
	v_cvt_f64_f32_e32 v[2:3], v2
	v_add_co_u32 v6, vcc_lo, 0x1000, v13
	v_add_co_ci_u32_e32 v7, vcc_lo, 0, v14, vcc_lo
	v_mul_f64 v[0:1], v[0:1], s[0:1]
	v_mul_f64 v[2:3], v[2:3], s[0:1]
	v_cvt_f32_f64_e32 v0, v[0:1]
	v_cvt_f32_f64_e32 v1, v[2:3]
	global_store_dwordx2 v[4:5], v[0:1], off
	global_load_dwordx2 v[8:9], v[6:7], off offset:384
	v_add_nc_u32_e32 v0, 0x1000, v138
	v_add_co_u32 v4, vcc_lo, v4, s3
	v_add_co_ci_u32_e32 v5, vcc_lo, s2, v5, vcc_lo
	ds_read2_b64 v[0:3], v0 offset0:48 offset1:160
	s_waitcnt vmcnt(0) lgkmcnt(0)
	v_mul_f32_e32 v10, v1, v9
	v_mul_f32_e32 v9, v0, v9
	v_fmac_f32_e32 v10, v0, v8
	v_fma_f32 v8, v8, v1, -v9
	v_cvt_f64_f32_e32 v[0:1], v10
	v_cvt_f64_f32_e32 v[8:9], v8
	v_mul_f64 v[0:1], v[0:1], s[0:1]
	v_mul_f64 v[8:9], v[8:9], s[0:1]
	v_cvt_f32_f64_e32 v0, v[0:1]
	v_cvt_f32_f64_e32 v1, v[8:9]
	global_store_dwordx2 v[4:5], v[0:1], off
	global_load_dwordx2 v[0:1], v[6:7], off offset:1280
	v_add_co_u32 v4, vcc_lo, v4, s3
	v_add_co_ci_u32_e32 v5, vcc_lo, s2, v5, vcc_lo
	s_waitcnt vmcnt(0)
	v_mul_f32_e32 v6, v3, v1
	v_mul_f32_e32 v1, v2, v1
	v_fmac_f32_e32 v6, v2, v0
	v_fma_f32 v2, v0, v3, -v1
	v_cvt_f64_f32_e32 v[0:1], v6
	v_cvt_f64_f32_e32 v[2:3], v2
	v_add_co_u32 v6, vcc_lo, 0x1800, v13
	v_add_co_ci_u32_e32 v7, vcc_lo, 0, v14, vcc_lo
	v_mul_f64 v[0:1], v[0:1], s[0:1]
	v_mul_f64 v[2:3], v[2:3], s[0:1]
	v_cvt_f32_f64_e32 v0, v[0:1]
	v_cvt_f32_f64_e32 v1, v[2:3]
	global_store_dwordx2 v[4:5], v[0:1], off
	global_load_dwordx2 v[8:9], v[6:7], off offset:128
	v_add_nc_u32_e32 v0, 0x1800, v138
	v_add_co_u32 v4, vcc_lo, v4, s3
	v_add_co_ci_u32_e32 v5, vcc_lo, s2, v5, vcc_lo
	ds_read2_b64 v[0:3], v0 offset0:16 offset1:128
	s_waitcnt vmcnt(0) lgkmcnt(0)
	v_mul_f32_e32 v10, v1, v9
	v_mul_f32_e32 v9, v0, v9
	v_fmac_f32_e32 v10, v0, v8
	v_fma_f32 v8, v8, v1, -v9
	v_cvt_f64_f32_e32 v[0:1], v10
	v_cvt_f64_f32_e32 v[8:9], v8
	v_mul_f64 v[0:1], v[0:1], s[0:1]
	v_mul_f64 v[8:9], v[8:9], s[0:1]
	v_cvt_f32_f64_e32 v0, v[0:1]
	v_cvt_f32_f64_e32 v1, v[8:9]
	v_lshlrev_b32_e32 v8, 3, v139
	global_store_dwordx2 v[4:5], v[0:1], off
	global_load_dwordx2 v[0:1], v8, s[12:13]
	v_mad_u64_u32 v[4:5], null, 0x700, s4, v[4:5]
	s_waitcnt vmcnt(0)
	v_mul_f32_e32 v8, v3, v1
	v_mul_f32_e32 v1, v2, v1
	v_fmac_f32_e32 v8, v2, v0
	v_fma_f32 v2, v0, v3, -v1
	v_cvt_f64_f32_e32 v[0:1], v8
	v_cvt_f64_f32_e32 v[2:3], v2
	v_mad_u64_u32 v[8:9], null, s4, v139, 0
	v_mad_u64_u32 v[9:10], null, s5, v139, v[9:10]
	v_mul_f64 v[0:1], v[0:1], s[0:1]
	v_mul_f64 v[2:3], v[2:3], s[0:1]
	v_cvt_f32_f64_e32 v0, v[0:1]
	v_cvt_f32_f64_e32 v1, v[2:3]
	v_lshlrev_b64 v[2:3], 3, v[8:9]
	v_add_co_u32 v2, vcc_lo, v11, v2
	v_add_co_ci_u32_e32 v3, vcc_lo, v12, v3, vcc_lo
	global_store_dwordx2 v[2:3], v[0:1], off
	global_load_dwordx2 v[6:7], v[6:7], off offset:1920
	v_add_nc_u32_e32 v0, 0x1c00, v138
	ds_read2_b64 v[0:3], v0 offset0:112 offset1:224
	s_waitcnt vmcnt(0) lgkmcnt(0)
	v_mul_f32_e32 v8, v1, v7
	v_mul_f32_e32 v7, v0, v7
	v_fmac_f32_e32 v8, v0, v6
	v_fma_f32 v6, v6, v1, -v7
	v_cvt_f64_f32_e32 v[0:1], v8
	v_cvt_f64_f32_e32 v[6:7], v6
	v_mul_f64 v[0:1], v[0:1], s[0:1]
	v_mul_f64 v[6:7], v[6:7], s[0:1]
	v_cvt_f32_f64_e32 v0, v[0:1]
	v_cvt_f32_f64_e32 v1, v[6:7]
	v_mad_u64_u32 v[5:6], null, 0x700, s5, v[5:6]
	v_add_co_u32 v6, vcc_lo, 0x2000, v13
	v_add_co_ci_u32_e32 v7, vcc_lo, 0, v14, vcc_lo
	global_store_dwordx2 v[4:5], v[0:1], off
	global_load_dwordx2 v[0:1], v[6:7], off offset:768
	v_add_co_u32 v4, vcc_lo, v4, s3
	v_add_co_ci_u32_e32 v5, vcc_lo, s2, v5, vcc_lo
	s_waitcnt vmcnt(0)
	v_mul_f32_e32 v8, v3, v1
	v_mul_f32_e32 v1, v2, v1
	v_fmac_f32_e32 v8, v2, v0
	v_fma_f32 v2, v0, v3, -v1
	v_cvt_f64_f32_e32 v[0:1], v8
	v_cvt_f64_f32_e32 v[2:3], v2
	v_mul_f64 v[0:1], v[0:1], s[0:1]
	v_mul_f64 v[2:3], v[2:3], s[0:1]
	v_cvt_f32_f64_e32 v0, v[0:1]
	v_cvt_f32_f64_e32 v1, v[2:3]
	global_store_dwordx2 v[4:5], v[0:1], off
	global_load_dwordx2 v[6:7], v[6:7], off offset:1664
	v_add_nc_u32_e32 v0, 0x2400, v138
	v_add_co_u32 v4, vcc_lo, v4, s3
	v_add_co_ci_u32_e32 v5, vcc_lo, s2, v5, vcc_lo
	ds_read2_b64 v[0:3], v0 offset0:80 offset1:192
	s_waitcnt vmcnt(0) lgkmcnt(0)
	v_mul_f32_e32 v8, v1, v7
	v_mul_f32_e32 v7, v0, v7
	v_fmac_f32_e32 v8, v0, v6
	v_fma_f32 v6, v6, v1, -v7
	v_cvt_f64_f32_e32 v[0:1], v8
	v_cvt_f64_f32_e32 v[6:7], v6
	v_mul_f64 v[0:1], v[0:1], s[0:1]
	v_mul_f64 v[6:7], v[6:7], s[0:1]
	v_cvt_f32_f64_e32 v0, v[0:1]
	v_cvt_f32_f64_e32 v1, v[6:7]
	v_add_co_u32 v6, vcc_lo, 0x2800, v13
	v_add_co_ci_u32_e32 v7, vcc_lo, 0, v14, vcc_lo
	global_store_dwordx2 v[4:5], v[0:1], off
	global_load_dwordx2 v[0:1], v[6:7], off offset:512
	v_add_co_u32 v4, vcc_lo, v4, s3
	v_add_co_ci_u32_e32 v5, vcc_lo, s2, v5, vcc_lo
	s_waitcnt vmcnt(0)
	v_mul_f32_e32 v8, v3, v1
	v_mul_f32_e32 v1, v2, v1
	v_fmac_f32_e32 v8, v2, v0
	v_fma_f32 v2, v0, v3, -v1
	v_cvt_f64_f32_e32 v[0:1], v8
	v_cvt_f64_f32_e32 v[2:3], v2
	v_mul_f64 v[0:1], v[0:1], s[0:1]
	v_mul_f64 v[2:3], v[2:3], s[0:1]
	v_cvt_f32_f64_e32 v0, v[0:1]
	v_cvt_f32_f64_e32 v1, v[2:3]
	global_store_dwordx2 v[4:5], v[0:1], off
	global_load_dwordx2 v[6:7], v[6:7], off offset:1408
	v_add_nc_u32_e32 v0, 0x2c00, v138
	v_add_co_u32 v4, vcc_lo, v4, s3
	v_add_co_ci_u32_e32 v5, vcc_lo, s2, v5, vcc_lo
	ds_read2_b64 v[0:3], v0 offset0:48 offset1:160
	s_waitcnt vmcnt(0) lgkmcnt(0)
	v_mul_f32_e32 v8, v1, v7
	v_mul_f32_e32 v7, v0, v7
	v_fmac_f32_e32 v8, v0, v6
	v_fma_f32 v6, v6, v1, -v7
	v_cvt_f64_f32_e32 v[0:1], v8
	v_cvt_f64_f32_e32 v[6:7], v6
	v_mul_f64 v[0:1], v[0:1], s[0:1]
	v_mul_f64 v[6:7], v[6:7], s[0:1]
	v_cvt_f32_f64_e32 v0, v[0:1]
	v_cvt_f32_f64_e32 v1, v[6:7]
	;; [unrolled: 34-line block ×3, first 2 shown]
	v_lshlrev_b32_e32 v6, 3, v137
	global_store_dwordx2 v[4:5], v[0:1], off
	global_load_dwordx2 v[0:1], v6, s[12:13]
	s_waitcnt vmcnt(0)
	v_mul_f32_e32 v4, v3, v1
	v_mul_f32_e32 v1, v2, v1
	v_fmac_f32_e32 v4, v2, v0
	v_fma_f32 v2, v0, v3, -v1
	v_cvt_f64_f32_e32 v[0:1], v4
	v_cvt_f64_f32_e32 v[2:3], v2
	v_mad_u64_u32 v[4:5], null, s4, v137, 0
	v_mad_u64_u32 v[5:6], null, s5, v137, v[5:6]
	v_mul_f64 v[0:1], v[0:1], s[0:1]
	v_mul_f64 v[2:3], v[2:3], s[0:1]
	v_cvt_f32_f64_e32 v0, v[0:1]
	v_cvt_f32_f64_e32 v1, v[2:3]
	v_lshlrev_b64 v[2:3], 3, v[4:5]
	v_add_co_u32 v2, vcc_lo, v11, v2
	v_add_co_ci_u32_e32 v3, vcc_lo, v12, v3, vcc_lo
	global_store_dwordx2 v[2:3], v[0:1], off
.LBB0_23:
	s_endpgm
	.section	.rodata,"a",@progbits
	.p2align	6, 0x0
	.amdhsa_kernel bluestein_single_fwd_len1904_dim1_sp_op_CI_CI
		.amdhsa_group_segment_fixed_size 15232
		.amdhsa_private_segment_fixed_size 188
		.amdhsa_kernarg_size 104
		.amdhsa_user_sgpr_count 6
		.amdhsa_user_sgpr_private_segment_buffer 1
		.amdhsa_user_sgpr_dispatch_ptr 0
		.amdhsa_user_sgpr_queue_ptr 0
		.amdhsa_user_sgpr_kernarg_segment_ptr 1
		.amdhsa_user_sgpr_dispatch_id 0
		.amdhsa_user_sgpr_flat_scratch_init 0
		.amdhsa_user_sgpr_private_segment_size 0
		.amdhsa_wavefront_size32 1
		.amdhsa_uses_dynamic_stack 0
		.amdhsa_system_sgpr_private_segment_wavefront_offset 1
		.amdhsa_system_sgpr_workgroup_id_x 1
		.amdhsa_system_sgpr_workgroup_id_y 0
		.amdhsa_system_sgpr_workgroup_id_z 0
		.amdhsa_system_sgpr_workgroup_info 0
		.amdhsa_system_vgpr_workitem_id 0
		.amdhsa_next_free_vgpr 256
		.amdhsa_next_free_sgpr 20
		.amdhsa_reserve_vcc 1
		.amdhsa_reserve_flat_scratch 0
		.amdhsa_float_round_mode_32 0
		.amdhsa_float_round_mode_16_64 0
		.amdhsa_float_denorm_mode_32 3
		.amdhsa_float_denorm_mode_16_64 3
		.amdhsa_dx10_clamp 1
		.amdhsa_ieee_mode 1
		.amdhsa_fp16_overflow 0
		.amdhsa_workgroup_processor_mode 1
		.amdhsa_memory_ordered 1
		.amdhsa_forward_progress 0
		.amdhsa_shared_vgpr_count 0
		.amdhsa_exception_fp_ieee_invalid_op 0
		.amdhsa_exception_fp_denorm_src 0
		.amdhsa_exception_fp_ieee_div_zero 0
		.amdhsa_exception_fp_ieee_overflow 0
		.amdhsa_exception_fp_ieee_underflow 0
		.amdhsa_exception_fp_ieee_inexact 0
		.amdhsa_exception_int_div_zero 0
	.end_amdhsa_kernel
	.text
.Lfunc_end0:
	.size	bluestein_single_fwd_len1904_dim1_sp_op_CI_CI, .Lfunc_end0-bluestein_single_fwd_len1904_dim1_sp_op_CI_CI
                                        ; -- End function
	.section	.AMDGPU.csdata,"",@progbits
; Kernel info:
; codeLenInByte = 25460
; NumSgprs: 22
; NumVgprs: 256
; ScratchSize: 188
; MemoryBound: 0
; FloatMode: 240
; IeeeMode: 1
; LDSByteSize: 15232 bytes/workgroup (compile time only)
; SGPRBlocks: 2
; VGPRBlocks: 31
; NumSGPRsForWavesPerEU: 22
; NumVGPRsForWavesPerEU: 256
; Occupancy: 4
; WaveLimiterHint : 1
; COMPUTE_PGM_RSRC2:SCRATCH_EN: 1
; COMPUTE_PGM_RSRC2:USER_SGPR: 6
; COMPUTE_PGM_RSRC2:TRAP_HANDLER: 0
; COMPUTE_PGM_RSRC2:TGID_X_EN: 1
; COMPUTE_PGM_RSRC2:TGID_Y_EN: 0
; COMPUTE_PGM_RSRC2:TGID_Z_EN: 0
; COMPUTE_PGM_RSRC2:TIDIG_COMP_CNT: 0
	.text
	.p2alignl 6, 3214868480
	.fill 48, 4, 3214868480
	.type	__hip_cuid_cef69aaa5e2fbf0,@object ; @__hip_cuid_cef69aaa5e2fbf0
	.section	.bss,"aw",@nobits
	.globl	__hip_cuid_cef69aaa5e2fbf0
__hip_cuid_cef69aaa5e2fbf0:
	.byte	0                               ; 0x0
	.size	__hip_cuid_cef69aaa5e2fbf0, 1

	.ident	"AMD clang version 19.0.0git (https://github.com/RadeonOpenCompute/llvm-project roc-6.4.0 25133 c7fe45cf4b819c5991fe208aaa96edf142730f1d)"
	.section	".note.GNU-stack","",@progbits
	.addrsig
	.addrsig_sym __hip_cuid_cef69aaa5e2fbf0
	.amdgpu_metadata
---
amdhsa.kernels:
  - .args:
      - .actual_access:  read_only
        .address_space:  global
        .offset:         0
        .size:           8
        .value_kind:     global_buffer
      - .actual_access:  read_only
        .address_space:  global
        .offset:         8
        .size:           8
        .value_kind:     global_buffer
      - .actual_access:  read_only
        .address_space:  global
        .offset:         16
        .size:           8
        .value_kind:     global_buffer
      - .actual_access:  read_only
        .address_space:  global
        .offset:         24
        .size:           8
        .value_kind:     global_buffer
      - .actual_access:  read_only
        .address_space:  global
        .offset:         32
        .size:           8
        .value_kind:     global_buffer
      - .offset:         40
        .size:           8
        .value_kind:     by_value
      - .address_space:  global
        .offset:         48
        .size:           8
        .value_kind:     global_buffer
      - .address_space:  global
        .offset:         56
        .size:           8
        .value_kind:     global_buffer
      - .address_space:  global
        .offset:         64
        .size:           8
        .value_kind:     global_buffer
      - .address_space:  global
        .offset:         72
        .size:           8
        .value_kind:     global_buffer
      - .offset:         80
        .size:           4
        .value_kind:     by_value
      - .address_space:  global
        .offset:         88
        .size:           8
        .value_kind:     global_buffer
      - .address_space:  global
        .offset:         96
        .size:           8
        .value_kind:     global_buffer
    .group_segment_fixed_size: 15232
    .kernarg_segment_align: 8
    .kernarg_segment_size: 104
    .language:       OpenCL C
    .language_version:
      - 2
      - 0
    .max_flat_workgroup_size: 119
    .name:           bluestein_single_fwd_len1904_dim1_sp_op_CI_CI
    .private_segment_fixed_size: 188
    .sgpr_count:     22
    .sgpr_spill_count: 0
    .symbol:         bluestein_single_fwd_len1904_dim1_sp_op_CI_CI.kd
    .uniform_work_group_size: 1
    .uses_dynamic_stack: false
    .vgpr_count:     256
    .vgpr_spill_count: 46
    .wavefront_size: 32
    .workgroup_processor_mode: 1
amdhsa.target:   amdgcn-amd-amdhsa--gfx1030
amdhsa.version:
  - 1
  - 2
...

	.end_amdgpu_metadata
